;; amdgpu-corpus repo=ROCm/composable_kernel kind=compiled arch=gfx1100 opt=O3
	.text
	.amdgcn_target "amdgcn-amd-amdhsa--gfx1100"
	.amdhsa_code_object_version 6
	.section	.text._ZN2ckL12flush_icacheEv,"axG",@progbits,_ZN2ckL12flush_icacheEv,comdat
	.globl	_ZN2ckL12flush_icacheEv         ; -- Begin function _ZN2ckL12flush_icacheEv
	.p2align	8
	.type	_ZN2ckL12flush_icacheEv,@function
_ZN2ckL12flush_icacheEv:                ; @_ZN2ckL12flush_icacheEv
; %bb.0:
	;;#ASMSTART
	s_icache_inv 
	s_nop 0 
	s_nop 0 
	;; [unrolled: 1-line block ×16, first 2 shown]
	
	;;#ASMEND
	s_endpgm
	.section	.rodata,"a",@progbits
	.p2align	6, 0x0
	.amdhsa_kernel _ZN2ckL12flush_icacheEv
		.amdhsa_group_segment_fixed_size 0
		.amdhsa_private_segment_fixed_size 0
		.amdhsa_kernarg_size 0
		.amdhsa_user_sgpr_count 15
		.amdhsa_user_sgpr_dispatch_ptr 0
		.amdhsa_user_sgpr_queue_ptr 0
		.amdhsa_user_sgpr_kernarg_segment_ptr 0
		.amdhsa_user_sgpr_dispatch_id 0
		.amdhsa_user_sgpr_private_segment_size 0
		.amdhsa_wavefront_size32 1
		.amdhsa_uses_dynamic_stack 0
		.amdhsa_enable_private_segment 0
		.amdhsa_system_sgpr_workgroup_id_x 1
		.amdhsa_system_sgpr_workgroup_id_y 0
		.amdhsa_system_sgpr_workgroup_id_z 0
		.amdhsa_system_sgpr_workgroup_info 0
		.amdhsa_system_vgpr_workitem_id 0
		.amdhsa_next_free_vgpr 1
		.amdhsa_next_free_sgpr 1
		.amdhsa_reserve_vcc 0
		.amdhsa_float_round_mode_32 0
		.amdhsa_float_round_mode_16_64 0
		.amdhsa_float_denorm_mode_32 3
		.amdhsa_float_denorm_mode_16_64 3
		.amdhsa_dx10_clamp 1
		.amdhsa_ieee_mode 1
		.amdhsa_fp16_overflow 0
		.amdhsa_workgroup_processor_mode 1
		.amdhsa_memory_ordered 1
		.amdhsa_forward_progress 0
		.amdhsa_shared_vgpr_count 0
		.amdhsa_exception_fp_ieee_invalid_op 0
		.amdhsa_exception_fp_denorm_src 0
		.amdhsa_exception_fp_ieee_div_zero 0
		.amdhsa_exception_fp_ieee_overflow 0
		.amdhsa_exception_fp_ieee_underflow 0
		.amdhsa_exception_fp_ieee_inexact 0
		.amdhsa_exception_int_div_zero 0
	.end_amdhsa_kernel
	.section	.text._ZN2ckL12flush_icacheEv,"axG",@progbits,_ZN2ckL12flush_icacheEv,comdat
.Lfunc_end0:
	.size	_ZN2ckL12flush_icacheEv, .Lfunc_end0-_ZN2ckL12flush_icacheEv
                                        ; -- End function
	.section	.AMDGPU.csdata,"",@progbits
; Kernel info:
; codeLenInByte = 344
; NumSgprs: 0
; NumVgprs: 0
; ScratchSize: 0
; MemoryBound: 0
; FloatMode: 240
; IeeeMode: 1
; LDSByteSize: 0 bytes/workgroup (compile time only)
; SGPRBlocks: 0
; VGPRBlocks: 0
; NumSGPRsForWavesPerEU: 1
; NumVGPRsForWavesPerEU: 1
; Occupancy: 16
; WaveLimiterHint : 0
; COMPUTE_PGM_RSRC2:SCRATCH_EN: 0
; COMPUTE_PGM_RSRC2:USER_SGPR: 15
; COMPUTE_PGM_RSRC2:TRAP_HANDLER: 0
; COMPUTE_PGM_RSRC2:TGID_X_EN: 1
; COMPUTE_PGM_RSRC2:TGID_Y_EN: 0
; COMPUTE_PGM_RSRC2:TGID_Z_EN: 0
; COMPUTE_PGM_RSRC2:TIDIG_COMP_CNT: 0
	.text
	.p2align	2                               ; -- Begin function _ZNK2ck6detail15static_for_implINS_8SequenceIJLi1ELi2ELi3ELi4ELi5ELi6ELi7ELi8ELi9ELi10ELi11ELi12ELi13ELi14ELi15EEEEEclIZNKS_80BlockwiseGemmDl_A_BK0_BM_BK1_B_BK0_BN_BK1_C_BM0_BM1_BN0_BN1_pipeline_BM0_2_BN0_2ILi256EaaiKNS_16TensorDescriptorINS_5TupleIJNS_5EmbedINS8_IJNS_17integral_constantIiLi16EEENSA_IiLi128EEENSA_IiLi4EEEEEENS8_IJNSA_IiLi512EEESD_NSA_IiLi1EEEEEELb0EEEEEENS8_IJNS2_IJLi0EEEEEEENS8_IJNS2_IJLi1ELi2ELi3EEEEEEESM_NSA_IlLl8192EEEEESQ_Li4ELi4ELi1ENS2_IJLi8ELi2EEEESR_Li4ELi4ELb0EE3RunINS7_INS8_IJNS_7UnMergeINS8_IJNSA_IiLi2EEESD_SV_SD_EEELb0EEEEEESL_NS8_IJNS2_IJLi1ELi2ELi3ELi4EEEEEEESZ_NSA_IlLl64EEEEENS_13DynamicBufferILNS_16AddressSpaceEnumE2EaSO_Lb1ELNS_22AmdBufferCoherenceEnumE0EiEES16_NS_12StaticBufferILS14_4EiLi64ELb1EEEEEvRKT_RKT0_RKT1_RT2_EUlS19_E_EEvS19_
	.type	_ZNK2ck6detail15static_for_implINS_8SequenceIJLi1ELi2ELi3ELi4ELi5ELi6ELi7ELi8ELi9ELi10ELi11ELi12ELi13ELi14ELi15EEEEEclIZNKS_80BlockwiseGemmDl_A_BK0_BM_BK1_B_BK0_BN_BK1_C_BM0_BM1_BN0_BN1_pipeline_BM0_2_BN0_2ILi256EaaiKNS_16TensorDescriptorINS_5TupleIJNS_5EmbedINS8_IJNS_17integral_constantIiLi16EEENSA_IiLi128EEENSA_IiLi4EEEEEENS8_IJNSA_IiLi512EEESD_NSA_IiLi1EEEEEELb0EEEEEENS8_IJNS2_IJLi0EEEEEEENS8_IJNS2_IJLi1ELi2ELi3EEEEEEESM_NSA_IlLl8192EEEEESQ_Li4ELi4ELi1ENS2_IJLi8ELi2EEEESR_Li4ELi4ELb0EE3RunINS7_INS8_IJNS_7UnMergeINS8_IJNSA_IiLi2EEESD_SV_SD_EEELb0EEEEEESL_NS8_IJNS2_IJLi1ELi2ELi3ELi4EEEEEEESZ_NSA_IlLl64EEEEENS_13DynamicBufferILNS_16AddressSpaceEnumE2EaSO_Lb1ELNS_22AmdBufferCoherenceEnumE0EiEES16_NS_12StaticBufferILS14_4EiLi64ELb1EEEEEvRKT_RKT0_RKT1_RT2_EUlS19_E_EEvS19_,@function
_ZNK2ck6detail15static_for_implINS_8SequenceIJLi1ELi2ELi3ELi4ELi5ELi6ELi7ELi8ELi9ELi10ELi11ELi12ELi13ELi14ELi15EEEEEclIZNKS_80BlockwiseGemmDl_A_BK0_BM_BK1_B_BK0_BN_BK1_C_BM0_BM1_BN0_BN1_pipeline_BM0_2_BN0_2ILi256EaaiKNS_16TensorDescriptorINS_5TupleIJNS_5EmbedINS8_IJNS_17integral_constantIiLi16EEENSA_IiLi128EEENSA_IiLi4EEEEEENS8_IJNSA_IiLi512EEESD_NSA_IiLi1EEEEEELb0EEEEEENS8_IJNS2_IJLi0EEEEEEENS8_IJNS2_IJLi1ELi2ELi3EEEEEEESM_NSA_IlLl8192EEEEESQ_Li4ELi4ELi1ENS2_IJLi8ELi2EEEESR_Li4ELi4ELb0EE3RunINS7_INS8_IJNS_7UnMergeINS8_IJNSA_IiLi2EEESD_SV_SD_EEELb0EEEEEESL_NS8_IJNS2_IJLi1ELi2ELi3ELi4EEEEEEESZ_NSA_IlLl64EEEEENS_13DynamicBufferILNS_16AddressSpaceEnumE2EaSO_Lb1ELNS_22AmdBufferCoherenceEnumE0EiEES16_NS_12StaticBufferILS14_4EiLi64ELb1EEEEEvRKT_RKT0_RKT1_RT2_EUlS19_E_EEvS19_: ; @_ZNK2ck6detail15static_for_implINS_8SequenceIJLi1ELi2ELi3ELi4ELi5ELi6ELi7ELi8ELi9ELi10ELi11ELi12ELi13ELi14ELi15EEEEEclIZNKS_80BlockwiseGemmDl_A_BK0_BM_BK1_B_BK0_BN_BK1_C_BM0_BM1_BN0_BN1_pipeline_BM0_2_BN0_2ILi256EaaiKNS_16TensorDescriptorINS_5TupleIJNS_5EmbedINS8_IJNS_17integral_constantIiLi16EEENSA_IiLi128EEENSA_IiLi4EEEEEENS8_IJNSA_IiLi512EEESD_NSA_IiLi1EEEEEELb0EEEEEENS8_IJNS2_IJLi0EEEEEEENS8_IJNS2_IJLi1ELi2ELi3EEEEEEESM_NSA_IlLl8192EEEEESQ_Li4ELi4ELi1ENS2_IJLi8ELi2EEEESR_Li4ELi4ELb0EE3RunINS7_INS8_IJNS_7UnMergeINS8_IJNSA_IiLi2EEESD_SV_SD_EEELb0EEEEEESL_NS8_IJNS2_IJLi1ELi2ELi3ELi4EEEEEEESZ_NSA_IlLl64EEEEENS_13DynamicBufferILNS_16AddressSpaceEnumE2EaSO_Lb1ELNS_22AmdBufferCoherenceEnumE0EiEES16_NS_12StaticBufferILS14_4EiLi64ELb1EEEEEvRKT_RKT0_RKT1_RT2_EUlS19_E_EEvS19_
; %bb.0:
	s_waitcnt vmcnt(0) expcnt(0) lgkmcnt(0)
	flat_load_b32 v14, v[0:1] offset:16
	flat_load_b64 v[12:13], v[2:3]
	s_waitcnt vmcnt(1) lgkmcnt(1)
	v_ashrrev_i32_e32 v15, 31, v14
	s_waitcnt vmcnt(0) lgkmcnt(0)
	v_add_co_u32 v12, vcc_lo, v12, v14
	s_delay_alu instid0(VALU_DEP_2)
	v_add_co_ci_u32_e32 v13, vcc_lo, v13, v15, vcc_lo
	flat_load_b128 v[12:15], v[12:13] offset:512
	flat_load_b32 v20, v[4:5] offset:16
	s_waitcnt vmcnt(1) lgkmcnt(1)
	flat_store_b128 v[4:5], v[12:15]
	flat_load_b32 v21, v[6:7]
	s_clause 0x1
	flat_load_b128 v[12:15], v[8:9] offset:128
	flat_load_b128 v[16:19], v[8:9] offset:160
	s_waitcnt vmcnt(1) lgkmcnt(1)
	v_dot4_i32_iu8 v12, v20, v21, v12 neg_lo:[1,1,0]
	flat_store_b32 v[8:9], v12 offset:128
	flat_load_b32 v12, v[4:5] offset:16
	flat_load_b32 v20, v[6:7] offset:4
	s_waitcnt vmcnt(0) lgkmcnt(0)
	v_dot4_i32_iu8 v12, v12, v20, v13 neg_lo:[1,1,0]
	flat_store_b32 v[8:9], v12 offset:132
	flat_load_b32 v12, v[4:5] offset:16
	flat_load_b32 v13, v[6:7] offset:8
	;; [unrolled: 5-line block ×3, first 2 shown]
	s_waitcnt vmcnt(0) lgkmcnt(0)
	v_dot4_i32_iu8 v12, v12, v13, v15 neg_lo:[1,1,0]
	flat_store_b32 v[8:9], v12 offset:140
	flat_load_b32 v12, v[4:5] offset:20
	flat_load_b32 v13, v[6:7]
	s_waitcnt vmcnt(0) lgkmcnt(0)
	v_dot4_i32_iu8 v12, v12, v13, v16 neg_lo:[1,1,0]
	flat_store_b32 v[8:9], v12 offset:160
	flat_load_b32 v12, v[4:5] offset:20
	flat_load_b32 v13, v[6:7] offset:4
	s_waitcnt vmcnt(0) lgkmcnt(0)
	v_dot4_i32_iu8 v12, v12, v13, v17 neg_lo:[1,1,0]
	flat_store_b32 v[8:9], v12 offset:164
	flat_load_b32 v12, v[4:5] offset:20
	flat_load_b32 v13, v[6:7] offset:8
	;; [unrolled: 5-line block ×3, first 2 shown]
	s_waitcnt vmcnt(0) lgkmcnt(0)
	v_dot4_i32_iu8 v12, v12, v13, v19 neg_lo:[1,1,0]
	flat_store_b32 v[8:9], v12 offset:172
	flat_load_b32 v20, v[4:5] offset:24
	flat_load_b32 v21, v[6:7]
	s_clause 0x1
	flat_load_b128 v[12:15], v[8:9] offset:192
	flat_load_b128 v[16:19], v[8:9] offset:224
	s_waitcnt vmcnt(1) lgkmcnt(1)
	v_dot4_i32_iu8 v12, v20, v21, v12 neg_lo:[1,1,0]
	flat_store_b32 v[8:9], v12 offset:192
	flat_load_b32 v12, v[4:5] offset:24
	flat_load_b32 v20, v[6:7] offset:4
	s_waitcnt vmcnt(0) lgkmcnt(0)
	v_dot4_i32_iu8 v12, v12, v20, v13 neg_lo:[1,1,0]
	flat_store_b32 v[8:9], v12 offset:196
	flat_load_b32 v12, v[4:5] offset:24
	flat_load_b32 v13, v[6:7] offset:8
	;; [unrolled: 5-line block ×3, first 2 shown]
	s_waitcnt vmcnt(0) lgkmcnt(0)
	v_dot4_i32_iu8 v12, v12, v13, v15 neg_lo:[1,1,0]
	flat_store_b32 v[8:9], v12 offset:204
	flat_load_b32 v12, v[4:5] offset:28
	flat_load_b32 v13, v[6:7]
	s_waitcnt vmcnt(0) lgkmcnt(0)
	v_dot4_i32_iu8 v12, v12, v13, v16 neg_lo:[1,1,0]
	flat_store_b32 v[8:9], v12 offset:224
	flat_load_b32 v12, v[4:5] offset:28
	flat_load_b32 v13, v[6:7] offset:4
	s_waitcnt vmcnt(0) lgkmcnt(0)
	v_dot4_i32_iu8 v12, v12, v13, v17 neg_lo:[1,1,0]
	flat_store_b32 v[8:9], v12 offset:228
	flat_load_b32 v12, v[4:5] offset:28
	flat_load_b32 v13, v[6:7] offset:8
	;; [unrolled: 5-line block ×3, first 2 shown]
	s_waitcnt vmcnt(0) lgkmcnt(0)
	v_dot4_i32_iu8 v12, v12, v13, v19 neg_lo:[1,1,0]
	flat_store_b32 v[8:9], v12 offset:236
	flat_load_b32 v14, v[0:1] offset:48
	flat_load_b64 v[12:13], v[10:11]
	s_waitcnt vmcnt(1) lgkmcnt(1)
	v_ashrrev_i32_e32 v15, 31, v14
	s_waitcnt vmcnt(0) lgkmcnt(0)
	v_add_co_u32 v12, vcc_lo, v12, v14
	s_delay_alu instid0(VALU_DEP_2)
	v_add_co_ci_u32_e32 v13, vcc_lo, v13, v15, vcc_lo
	flat_load_b128 v[12:15], v[12:13] offset:512
	flat_load_b32 v20, v[6:7] offset:16
	s_waitcnt vmcnt(1) lgkmcnt(1)
	flat_store_b128 v[6:7], v[12:15]
	flat_load_b32 v21, v[4:5] offset:16
	s_clause 0x1
	flat_load_b128 v[12:15], v[8:9] offset:144
	flat_load_b128 v[16:19], v[8:9] offset:176
	s_waitcnt vmcnt(1) lgkmcnt(1)
	v_dot4_i32_iu8 v12, v21, v20, v12 neg_lo:[1,1,0]
	flat_store_b32 v[8:9], v12 offset:144
	flat_load_b32 v12, v[4:5] offset:16
	flat_load_b32 v20, v[6:7] offset:20
	s_waitcnt vmcnt(0) lgkmcnt(0)
	v_dot4_i32_iu8 v12, v12, v20, v13 neg_lo:[1,1,0]
	flat_store_b32 v[8:9], v12 offset:148
	flat_load_b32 v12, v[4:5] offset:16
	flat_load_b32 v13, v[6:7] offset:24
	;; [unrolled: 5-line block ×8, first 2 shown]
	s_clause 0x1
	flat_load_b128 v[12:15], v[8:9] offset:208
	flat_load_b128 v[16:19], v[8:9] offset:240
	s_waitcnt vmcnt(1) lgkmcnt(1)
	v_dot4_i32_iu8 v12, v20, v21, v12 neg_lo:[1,1,0]
	flat_store_b32 v[8:9], v12 offset:208
	flat_load_b32 v12, v[4:5] offset:24
	flat_load_b32 v20, v[6:7] offset:20
	s_waitcnt vmcnt(0) lgkmcnt(0)
	v_dot4_i32_iu8 v12, v12, v20, v13 neg_lo:[1,1,0]
	flat_store_b32 v[8:9], v12 offset:212
	flat_load_b32 v12, v[4:5] offset:24
	flat_load_b32 v13, v[6:7] offset:24
	;; [unrolled: 5-line block ×7, first 2 shown]
	s_waitcnt vmcnt(0) lgkmcnt(0)
	v_dot4_i32_iu8 v12, v12, v13, v19 neg_lo:[1,1,0]
	flat_store_b32 v[8:9], v12 offset:252
	flat_load_b32 v14, v[0:1] offset:48
	flat_load_b64 v[12:13], v[10:11]
	s_waitcnt vmcnt(1) lgkmcnt(1)
	v_ashrrev_i32_e32 v15, 31, v14
	s_waitcnt vmcnt(0) lgkmcnt(0)
	v_add_co_u32 v12, vcc_lo, v12, v14
	s_delay_alu instid0(VALU_DEP_2)
	v_add_co_ci_u32_e32 v13, vcc_lo, v13, v15, vcc_lo
	flat_load_b128 v[12:15], v[12:13] offset:768
	s_waitcnt vmcnt(0) lgkmcnt(0)
	flat_store_b128 v[6:7], v[12:15] offset:16
	flat_load_b32 v14, v[0:1] offset:16
	flat_load_b64 v[12:13], v[2:3]
	s_waitcnt vmcnt(1) lgkmcnt(1)
	v_ashrrev_i32_e32 v15, 31, v14
	s_waitcnt vmcnt(0) lgkmcnt(0)
	v_add_co_u32 v12, vcc_lo, v12, v14
	s_delay_alu instid0(VALU_DEP_2)
	v_add_co_ci_u32_e32 v13, vcc_lo, v13, v15, vcc_lo
	flat_load_b128 v[12:15], v[12:13] offset:768
	flat_load_b32 v20, v[4:5]
	s_waitcnt vmcnt(1) lgkmcnt(1)
	flat_store_b128 v[4:5], v[12:15] offset:16
	flat_load_b32 v21, v[6:7]
	s_clause 0x1
	flat_load_b128 v[12:15], v[8:9]
	flat_load_b128 v[16:19], v[8:9] offset:16
	s_waitcnt vmcnt(1) lgkmcnt(1)
	v_dot4_i32_iu8 v12, v20, v21, v12 neg_lo:[1,1,0]
	flat_store_b32 v[8:9], v12
	flat_load_b32 v12, v[4:5]
	flat_load_b32 v20, v[6:7] offset:4
	s_waitcnt vmcnt(0) lgkmcnt(0)
	v_dot4_i32_iu8 v12, v12, v20, v13 neg_lo:[1,1,0]
	flat_store_b32 v[8:9], v12 offset:4
	flat_load_b32 v12, v[4:5]
	flat_load_b32 v13, v[6:7] offset:8
	s_waitcnt vmcnt(0) lgkmcnt(0)
	v_dot4_i32_iu8 v12, v12, v13, v14 neg_lo:[1,1,0]
	flat_store_b32 v[8:9], v12 offset:8
	flat_load_b32 v12, v[4:5]
	flat_load_b32 v13, v[6:7] offset:12
	s_waitcnt vmcnt(0) lgkmcnt(0)
	v_dot4_i32_iu8 v12, v12, v13, v15 neg_lo:[1,1,0]
	flat_store_b32 v[8:9], v12 offset:12
	flat_load_b32 v24, v[4:5] offset:4
	flat_load_b32 v25, v[6:7]
	s_clause 0x1
	flat_load_b128 v[12:15], v[8:9] offset:32
	flat_load_b128 v[20:23], v[8:9] offset:48
	s_waitcnt vmcnt(1) lgkmcnt(1)
	v_dot4_i32_iu8 v12, v24, v25, v12 neg_lo:[1,1,0]
	flat_store_b32 v[8:9], v12 offset:32
	flat_load_b32 v12, v[4:5] offset:4
	flat_load_b32 v24, v[6:7] offset:4
	s_waitcnt vmcnt(0) lgkmcnt(0)
	v_dot4_i32_iu8 v12, v12, v24, v13 neg_lo:[1,1,0]
	flat_store_b32 v[8:9], v12 offset:36
	flat_load_b32 v12, v[4:5] offset:4
	flat_load_b32 v13, v[6:7] offset:8
	s_waitcnt vmcnt(0) lgkmcnt(0)
	v_dot4_i32_iu8 v12, v12, v13, v14 neg_lo:[1,1,0]
	flat_store_b32 v[8:9], v12 offset:40
	flat_load_b32 v12, v[4:5] offset:4
	flat_load_b32 v13, v[6:7] offset:12
	s_waitcnt vmcnt(0) lgkmcnt(0)
	v_dot4_i32_iu8 v12, v12, v13, v15 neg_lo:[1,1,0]
	flat_store_b32 v[8:9], v12 offset:44
	flat_load_b32 v28, v[4:5] offset:8
	flat_load_b32 v29, v[6:7]
	s_clause 0x1
	flat_load_b128 v[12:15], v[8:9] offset:64
	flat_load_b128 v[24:27], v[8:9] offset:80
	s_waitcnt vmcnt(1) lgkmcnt(1)
	v_dot4_i32_iu8 v12, v28, v29, v12 neg_lo:[1,1,0]
	flat_store_b32 v[8:9], v12 offset:64
	flat_load_b32 v12, v[4:5] offset:8
	flat_load_b32 v28, v[6:7] offset:4
	s_waitcnt vmcnt(0) lgkmcnt(0)
	v_dot4_i32_iu8 v12, v12, v28, v13 neg_lo:[1,1,0]
	flat_store_b32 v[8:9], v12 offset:68
	flat_load_b32 v12, v[4:5] offset:8
	flat_load_b32 v13, v[6:7] offset:8
	s_waitcnt vmcnt(0) lgkmcnt(0)
	v_dot4_i32_iu8 v12, v12, v13, v14 neg_lo:[1,1,0]
	flat_store_b32 v[8:9], v12 offset:72
	flat_load_b32 v12, v[4:5] offset:8
	flat_load_b32 v13, v[6:7] offset:12
	s_waitcnt vmcnt(0) lgkmcnt(0)
	v_dot4_i32_iu8 v12, v12, v13, v15 neg_lo:[1,1,0]
	flat_store_b32 v[8:9], v12 offset:76
	;; [unrolled: 23-line block ×3, first 2 shown]
	flat_load_b32 v12, v[4:5]
	flat_load_b32 v13, v[6:7] offset:16
	s_waitcnt vmcnt(0) lgkmcnt(0)
	v_dot4_i32_iu8 v12, v12, v13, v16 neg_lo:[1,1,0]
	flat_store_b32 v[8:9], v12 offset:16
	flat_load_b32 v12, v[4:5]
	flat_load_b32 v13, v[6:7] offset:20
	s_waitcnt vmcnt(0) lgkmcnt(0)
	v_dot4_i32_iu8 v12, v12, v13, v17 neg_lo:[1,1,0]
	flat_store_b32 v[8:9], v12 offset:20
	;; [unrolled: 5-line block ×4, first 2 shown]
	flat_load_b32 v12, v[4:5] offset:4
	flat_load_b32 v13, v[6:7] offset:16
	s_waitcnt vmcnt(0) lgkmcnt(0)
	v_dot4_i32_iu8 v12, v12, v13, v20 neg_lo:[1,1,0]
	flat_store_b32 v[8:9], v12 offset:48
	flat_load_b32 v12, v[4:5] offset:4
	flat_load_b32 v13, v[6:7] offset:20
	s_waitcnt vmcnt(0) lgkmcnt(0)
	v_dot4_i32_iu8 v12, v12, v13, v21 neg_lo:[1,1,0]
	flat_store_b32 v[8:9], v12 offset:52
	;; [unrolled: 5-line block ×12, first 2 shown]
	flat_load_b32 v14, v[0:1] offset:16
	flat_load_b64 v[12:13], v[2:3]
	s_waitcnt vmcnt(1) lgkmcnt(1)
	v_ashrrev_i32_e32 v15, 31, v14
	s_waitcnt vmcnt(0) lgkmcnt(0)
	v_add_co_u32 v12, vcc_lo, v12, v14
	s_delay_alu instid0(VALU_DEP_2)
	v_add_co_ci_u32_e32 v13, vcc_lo, v13, v15, vcc_lo
	flat_load_b128 v[12:15], v[12:13] offset:1024
	flat_load_b32 v20, v[4:5] offset:16
	s_waitcnt vmcnt(1) lgkmcnt(1)
	flat_store_b128 v[4:5], v[12:15]
	flat_load_b32 v21, v[6:7]
	s_clause 0x1
	flat_load_b128 v[12:15], v[8:9] offset:128
	flat_load_b128 v[16:19], v[8:9] offset:160
	s_waitcnt vmcnt(1) lgkmcnt(1)
	v_dot4_i32_iu8 v12, v20, v21, v12 neg_lo:[1,1,0]
	flat_store_b32 v[8:9], v12 offset:128
	flat_load_b32 v12, v[4:5] offset:16
	flat_load_b32 v20, v[6:7] offset:4
	s_waitcnt vmcnt(0) lgkmcnt(0)
	v_dot4_i32_iu8 v12, v12, v20, v13 neg_lo:[1,1,0]
	flat_store_b32 v[8:9], v12 offset:132
	flat_load_b32 v12, v[4:5] offset:16
	flat_load_b32 v13, v[6:7] offset:8
	;; [unrolled: 5-line block ×3, first 2 shown]
	s_waitcnt vmcnt(0) lgkmcnt(0)
	v_dot4_i32_iu8 v12, v12, v13, v15 neg_lo:[1,1,0]
	flat_store_b32 v[8:9], v12 offset:140
	flat_load_b32 v12, v[4:5] offset:20
	flat_load_b32 v13, v[6:7]
	s_waitcnt vmcnt(0) lgkmcnt(0)
	v_dot4_i32_iu8 v12, v12, v13, v16 neg_lo:[1,1,0]
	flat_store_b32 v[8:9], v12 offset:160
	flat_load_b32 v12, v[4:5] offset:20
	flat_load_b32 v13, v[6:7] offset:4
	s_waitcnt vmcnt(0) lgkmcnt(0)
	v_dot4_i32_iu8 v12, v12, v13, v17 neg_lo:[1,1,0]
	flat_store_b32 v[8:9], v12 offset:164
	flat_load_b32 v12, v[4:5] offset:20
	flat_load_b32 v13, v[6:7] offset:8
	;; [unrolled: 5-line block ×3, first 2 shown]
	s_waitcnt vmcnt(0) lgkmcnt(0)
	v_dot4_i32_iu8 v12, v12, v13, v19 neg_lo:[1,1,0]
	flat_store_b32 v[8:9], v12 offset:172
	flat_load_b32 v20, v[4:5] offset:24
	flat_load_b32 v21, v[6:7]
	s_clause 0x1
	flat_load_b128 v[12:15], v[8:9] offset:192
	flat_load_b128 v[16:19], v[8:9] offset:224
	s_waitcnt vmcnt(1) lgkmcnt(1)
	v_dot4_i32_iu8 v12, v20, v21, v12 neg_lo:[1,1,0]
	flat_store_b32 v[8:9], v12 offset:192
	flat_load_b32 v12, v[4:5] offset:24
	flat_load_b32 v20, v[6:7] offset:4
	s_waitcnt vmcnt(0) lgkmcnt(0)
	v_dot4_i32_iu8 v12, v12, v20, v13 neg_lo:[1,1,0]
	flat_store_b32 v[8:9], v12 offset:196
	flat_load_b32 v12, v[4:5] offset:24
	flat_load_b32 v13, v[6:7] offset:8
	;; [unrolled: 5-line block ×3, first 2 shown]
	s_waitcnt vmcnt(0) lgkmcnt(0)
	v_dot4_i32_iu8 v12, v12, v13, v15 neg_lo:[1,1,0]
	flat_store_b32 v[8:9], v12 offset:204
	flat_load_b32 v12, v[4:5] offset:28
	flat_load_b32 v13, v[6:7]
	s_waitcnt vmcnt(0) lgkmcnt(0)
	v_dot4_i32_iu8 v12, v12, v13, v16 neg_lo:[1,1,0]
	flat_store_b32 v[8:9], v12 offset:224
	flat_load_b32 v12, v[4:5] offset:28
	flat_load_b32 v13, v[6:7] offset:4
	s_waitcnt vmcnt(0) lgkmcnt(0)
	v_dot4_i32_iu8 v12, v12, v13, v17 neg_lo:[1,1,0]
	flat_store_b32 v[8:9], v12 offset:228
	flat_load_b32 v12, v[4:5] offset:28
	flat_load_b32 v13, v[6:7] offset:8
	s_waitcnt vmcnt(0) lgkmcnt(0)
	v_dot4_i32_iu8 v12, v12, v13, v18 neg_lo:[1,1,0]
	flat_store_b32 v[8:9], v12 offset:232
	flat_load_b32 v12, v[4:5] offset:28
	flat_load_b32 v13, v[6:7] offset:12
	s_waitcnt vmcnt(0) lgkmcnt(0)
	v_dot4_i32_iu8 v12, v12, v13, v19 neg_lo:[1,1,0]
	flat_store_b32 v[8:9], v12 offset:236
	flat_load_b32 v14, v[0:1] offset:48
	flat_load_b64 v[12:13], v[10:11]
	s_waitcnt vmcnt(1) lgkmcnt(1)
	v_ashrrev_i32_e32 v15, 31, v14
	s_waitcnt vmcnt(0) lgkmcnt(0)
	v_add_co_u32 v12, vcc_lo, v12, v14
	s_delay_alu instid0(VALU_DEP_2)
	v_add_co_ci_u32_e32 v13, vcc_lo, v13, v15, vcc_lo
	flat_load_b128 v[12:15], v[12:13] offset:1024
	flat_load_b32 v20, v[6:7] offset:16
	s_waitcnt vmcnt(1) lgkmcnt(1)
	flat_store_b128 v[6:7], v[12:15]
	flat_load_b32 v21, v[4:5] offset:16
	s_clause 0x1
	flat_load_b128 v[12:15], v[8:9] offset:144
	flat_load_b128 v[16:19], v[8:9] offset:176
	s_waitcnt vmcnt(1) lgkmcnt(1)
	v_dot4_i32_iu8 v12, v21, v20, v12 neg_lo:[1,1,0]
	flat_store_b32 v[8:9], v12 offset:144
	flat_load_b32 v12, v[4:5] offset:16
	flat_load_b32 v20, v[6:7] offset:20
	s_waitcnt vmcnt(0) lgkmcnt(0)
	v_dot4_i32_iu8 v12, v12, v20, v13 neg_lo:[1,1,0]
	flat_store_b32 v[8:9], v12 offset:148
	flat_load_b32 v12, v[4:5] offset:16
	flat_load_b32 v13, v[6:7] offset:24
	;; [unrolled: 5-line block ×8, first 2 shown]
	s_clause 0x1
	flat_load_b128 v[12:15], v[8:9] offset:208
	flat_load_b128 v[16:19], v[8:9] offset:240
	s_waitcnt vmcnt(1) lgkmcnt(1)
	v_dot4_i32_iu8 v12, v20, v21, v12 neg_lo:[1,1,0]
	flat_store_b32 v[8:9], v12 offset:208
	flat_load_b32 v12, v[4:5] offset:24
	flat_load_b32 v20, v[6:7] offset:20
	s_waitcnt vmcnt(0) lgkmcnt(0)
	v_dot4_i32_iu8 v12, v12, v20, v13 neg_lo:[1,1,0]
	flat_store_b32 v[8:9], v12 offset:212
	flat_load_b32 v12, v[4:5] offset:24
	flat_load_b32 v13, v[6:7] offset:24
	;; [unrolled: 5-line block ×7, first 2 shown]
	s_waitcnt vmcnt(0) lgkmcnt(0)
	v_dot4_i32_iu8 v12, v12, v13, v19 neg_lo:[1,1,0]
	flat_store_b32 v[8:9], v12 offset:252
	flat_load_b32 v14, v[0:1] offset:48
	flat_load_b64 v[12:13], v[10:11]
	s_waitcnt vmcnt(1) lgkmcnt(1)
	v_ashrrev_i32_e32 v15, 31, v14
	s_waitcnt vmcnt(0) lgkmcnt(0)
	v_add_co_u32 v12, vcc_lo, v12, v14
	s_delay_alu instid0(VALU_DEP_2)
	v_add_co_ci_u32_e32 v13, vcc_lo, v13, v15, vcc_lo
	flat_load_b128 v[12:15], v[12:13] offset:1280
	s_waitcnt vmcnt(0) lgkmcnt(0)
	flat_store_b128 v[6:7], v[12:15] offset:16
	flat_load_b32 v14, v[0:1] offset:16
	flat_load_b64 v[12:13], v[2:3]
	s_waitcnt vmcnt(1) lgkmcnt(1)
	v_ashrrev_i32_e32 v15, 31, v14
	s_waitcnt vmcnt(0) lgkmcnt(0)
	v_add_co_u32 v12, vcc_lo, v12, v14
	s_delay_alu instid0(VALU_DEP_2)
	v_add_co_ci_u32_e32 v13, vcc_lo, v13, v15, vcc_lo
	flat_load_b128 v[12:15], v[12:13] offset:1280
	flat_load_b32 v20, v[4:5]
	s_waitcnt vmcnt(1) lgkmcnt(1)
	flat_store_b128 v[4:5], v[12:15] offset:16
	flat_load_b32 v21, v[6:7]
	s_clause 0x1
	flat_load_b128 v[12:15], v[8:9]
	flat_load_b128 v[16:19], v[8:9] offset:16
	s_waitcnt vmcnt(1) lgkmcnt(1)
	v_dot4_i32_iu8 v12, v20, v21, v12 neg_lo:[1,1,0]
	flat_store_b32 v[8:9], v12
	flat_load_b32 v12, v[4:5]
	flat_load_b32 v20, v[6:7] offset:4
	s_waitcnt vmcnt(0) lgkmcnt(0)
	v_dot4_i32_iu8 v12, v12, v20, v13 neg_lo:[1,1,0]
	flat_store_b32 v[8:9], v12 offset:4
	flat_load_b32 v12, v[4:5]
	flat_load_b32 v13, v[6:7] offset:8
	s_waitcnt vmcnt(0) lgkmcnt(0)
	v_dot4_i32_iu8 v12, v12, v13, v14 neg_lo:[1,1,0]
	flat_store_b32 v[8:9], v12 offset:8
	;; [unrolled: 5-line block ×3, first 2 shown]
	flat_load_b32 v24, v[4:5] offset:4
	flat_load_b32 v25, v[6:7]
	s_clause 0x1
	flat_load_b128 v[12:15], v[8:9] offset:32
	flat_load_b128 v[20:23], v[8:9] offset:48
	s_waitcnt vmcnt(1) lgkmcnt(1)
	v_dot4_i32_iu8 v12, v24, v25, v12 neg_lo:[1,1,0]
	flat_store_b32 v[8:9], v12 offset:32
	flat_load_b32 v12, v[4:5] offset:4
	flat_load_b32 v24, v[6:7] offset:4
	s_waitcnt vmcnt(0) lgkmcnt(0)
	v_dot4_i32_iu8 v12, v12, v24, v13 neg_lo:[1,1,0]
	flat_store_b32 v[8:9], v12 offset:36
	flat_load_b32 v12, v[4:5] offset:4
	flat_load_b32 v13, v[6:7] offset:8
	s_waitcnt vmcnt(0) lgkmcnt(0)
	v_dot4_i32_iu8 v12, v12, v13, v14 neg_lo:[1,1,0]
	flat_store_b32 v[8:9], v12 offset:40
	flat_load_b32 v12, v[4:5] offset:4
	flat_load_b32 v13, v[6:7] offset:12
	s_waitcnt vmcnt(0) lgkmcnt(0)
	v_dot4_i32_iu8 v12, v12, v13, v15 neg_lo:[1,1,0]
	flat_store_b32 v[8:9], v12 offset:44
	flat_load_b32 v28, v[4:5] offset:8
	flat_load_b32 v29, v[6:7]
	s_clause 0x1
	flat_load_b128 v[12:15], v[8:9] offset:64
	flat_load_b128 v[24:27], v[8:9] offset:80
	s_waitcnt vmcnt(1) lgkmcnt(1)
	v_dot4_i32_iu8 v12, v28, v29, v12 neg_lo:[1,1,0]
	flat_store_b32 v[8:9], v12 offset:64
	flat_load_b32 v12, v[4:5] offset:8
	flat_load_b32 v28, v[6:7] offset:4
	s_waitcnt vmcnt(0) lgkmcnt(0)
	v_dot4_i32_iu8 v12, v12, v28, v13 neg_lo:[1,1,0]
	flat_store_b32 v[8:9], v12 offset:68
	flat_load_b32 v12, v[4:5] offset:8
	flat_load_b32 v13, v[6:7] offset:8
	s_waitcnt vmcnt(0) lgkmcnt(0)
	v_dot4_i32_iu8 v12, v12, v13, v14 neg_lo:[1,1,0]
	flat_store_b32 v[8:9], v12 offset:72
	flat_load_b32 v12, v[4:5] offset:8
	flat_load_b32 v13, v[6:7] offset:12
	s_waitcnt vmcnt(0) lgkmcnt(0)
	v_dot4_i32_iu8 v12, v12, v13, v15 neg_lo:[1,1,0]
	flat_store_b32 v[8:9], v12 offset:76
	;; [unrolled: 23-line block ×3, first 2 shown]
	flat_load_b32 v12, v[4:5]
	flat_load_b32 v13, v[6:7] offset:16
	s_waitcnt vmcnt(0) lgkmcnt(0)
	v_dot4_i32_iu8 v12, v12, v13, v16 neg_lo:[1,1,0]
	flat_store_b32 v[8:9], v12 offset:16
	flat_load_b32 v12, v[4:5]
	flat_load_b32 v13, v[6:7] offset:20
	s_waitcnt vmcnt(0) lgkmcnt(0)
	v_dot4_i32_iu8 v12, v12, v13, v17 neg_lo:[1,1,0]
	flat_store_b32 v[8:9], v12 offset:20
	;; [unrolled: 5-line block ×4, first 2 shown]
	flat_load_b32 v12, v[4:5] offset:4
	flat_load_b32 v13, v[6:7] offset:16
	s_waitcnt vmcnt(0) lgkmcnt(0)
	v_dot4_i32_iu8 v12, v12, v13, v20 neg_lo:[1,1,0]
	flat_store_b32 v[8:9], v12 offset:48
	flat_load_b32 v12, v[4:5] offset:4
	flat_load_b32 v13, v[6:7] offset:20
	s_waitcnt vmcnt(0) lgkmcnt(0)
	v_dot4_i32_iu8 v12, v12, v13, v21 neg_lo:[1,1,0]
	flat_store_b32 v[8:9], v12 offset:52
	;; [unrolled: 5-line block ×12, first 2 shown]
	flat_load_b32 v14, v[0:1] offset:16
	flat_load_b64 v[12:13], v[2:3]
	s_waitcnt vmcnt(1) lgkmcnt(1)
	v_ashrrev_i32_e32 v15, 31, v14
	s_waitcnt vmcnt(0) lgkmcnt(0)
	v_add_co_u32 v12, vcc_lo, v12, v14
	s_delay_alu instid0(VALU_DEP_2)
	v_add_co_ci_u32_e32 v13, vcc_lo, v13, v15, vcc_lo
	flat_load_b128 v[12:15], v[12:13] offset:1536
	flat_load_b32 v20, v[4:5] offset:16
	s_waitcnt vmcnt(1) lgkmcnt(1)
	flat_store_b128 v[4:5], v[12:15]
	flat_load_b32 v21, v[6:7]
	s_clause 0x1
	flat_load_b128 v[12:15], v[8:9] offset:128
	flat_load_b128 v[16:19], v[8:9] offset:160
	s_waitcnt vmcnt(1) lgkmcnt(1)
	v_dot4_i32_iu8 v12, v20, v21, v12 neg_lo:[1,1,0]
	flat_store_b32 v[8:9], v12 offset:128
	flat_load_b32 v12, v[4:5] offset:16
	flat_load_b32 v20, v[6:7] offset:4
	s_waitcnt vmcnt(0) lgkmcnt(0)
	v_dot4_i32_iu8 v12, v12, v20, v13 neg_lo:[1,1,0]
	flat_store_b32 v[8:9], v12 offset:132
	flat_load_b32 v12, v[4:5] offset:16
	flat_load_b32 v13, v[6:7] offset:8
	;; [unrolled: 5-line block ×3, first 2 shown]
	s_waitcnt vmcnt(0) lgkmcnt(0)
	v_dot4_i32_iu8 v12, v12, v13, v15 neg_lo:[1,1,0]
	flat_store_b32 v[8:9], v12 offset:140
	flat_load_b32 v12, v[4:5] offset:20
	flat_load_b32 v13, v[6:7]
	s_waitcnt vmcnt(0) lgkmcnt(0)
	v_dot4_i32_iu8 v12, v12, v13, v16 neg_lo:[1,1,0]
	flat_store_b32 v[8:9], v12 offset:160
	flat_load_b32 v12, v[4:5] offset:20
	flat_load_b32 v13, v[6:7] offset:4
	s_waitcnt vmcnt(0) lgkmcnt(0)
	v_dot4_i32_iu8 v12, v12, v13, v17 neg_lo:[1,1,0]
	flat_store_b32 v[8:9], v12 offset:164
	flat_load_b32 v12, v[4:5] offset:20
	flat_load_b32 v13, v[6:7] offset:8
	;; [unrolled: 5-line block ×3, first 2 shown]
	s_waitcnt vmcnt(0) lgkmcnt(0)
	v_dot4_i32_iu8 v12, v12, v13, v19 neg_lo:[1,1,0]
	flat_store_b32 v[8:9], v12 offset:172
	flat_load_b32 v20, v[4:5] offset:24
	flat_load_b32 v21, v[6:7]
	s_clause 0x1
	flat_load_b128 v[12:15], v[8:9] offset:192
	flat_load_b128 v[16:19], v[8:9] offset:224
	s_waitcnt vmcnt(1) lgkmcnt(1)
	v_dot4_i32_iu8 v12, v20, v21, v12 neg_lo:[1,1,0]
	flat_store_b32 v[8:9], v12 offset:192
	flat_load_b32 v12, v[4:5] offset:24
	flat_load_b32 v20, v[6:7] offset:4
	s_waitcnt vmcnt(0) lgkmcnt(0)
	v_dot4_i32_iu8 v12, v12, v20, v13 neg_lo:[1,1,0]
	flat_store_b32 v[8:9], v12 offset:196
	flat_load_b32 v12, v[4:5] offset:24
	flat_load_b32 v13, v[6:7] offset:8
	;; [unrolled: 5-line block ×3, first 2 shown]
	s_waitcnt vmcnt(0) lgkmcnt(0)
	v_dot4_i32_iu8 v12, v12, v13, v15 neg_lo:[1,1,0]
	flat_store_b32 v[8:9], v12 offset:204
	flat_load_b32 v12, v[4:5] offset:28
	flat_load_b32 v13, v[6:7]
	s_waitcnt vmcnt(0) lgkmcnt(0)
	v_dot4_i32_iu8 v12, v12, v13, v16 neg_lo:[1,1,0]
	flat_store_b32 v[8:9], v12 offset:224
	flat_load_b32 v12, v[4:5] offset:28
	flat_load_b32 v13, v[6:7] offset:4
	s_waitcnt vmcnt(0) lgkmcnt(0)
	v_dot4_i32_iu8 v12, v12, v13, v17 neg_lo:[1,1,0]
	flat_store_b32 v[8:9], v12 offset:228
	flat_load_b32 v12, v[4:5] offset:28
	flat_load_b32 v13, v[6:7] offset:8
	;; [unrolled: 5-line block ×3, first 2 shown]
	s_waitcnt vmcnt(0) lgkmcnt(0)
	v_dot4_i32_iu8 v12, v12, v13, v19 neg_lo:[1,1,0]
	flat_store_b32 v[8:9], v12 offset:236
	flat_load_b32 v14, v[0:1] offset:48
	flat_load_b64 v[12:13], v[10:11]
	s_waitcnt vmcnt(1) lgkmcnt(1)
	v_ashrrev_i32_e32 v15, 31, v14
	s_waitcnt vmcnt(0) lgkmcnt(0)
	v_add_co_u32 v12, vcc_lo, v12, v14
	s_delay_alu instid0(VALU_DEP_2)
	v_add_co_ci_u32_e32 v13, vcc_lo, v13, v15, vcc_lo
	flat_load_b128 v[12:15], v[12:13] offset:1536
	flat_load_b32 v20, v[6:7] offset:16
	s_waitcnt vmcnt(1) lgkmcnt(1)
	flat_store_b128 v[6:7], v[12:15]
	flat_load_b32 v21, v[4:5] offset:16
	s_clause 0x1
	flat_load_b128 v[12:15], v[8:9] offset:144
	flat_load_b128 v[16:19], v[8:9] offset:176
	s_waitcnt vmcnt(1) lgkmcnt(1)
	v_dot4_i32_iu8 v12, v21, v20, v12 neg_lo:[1,1,0]
	flat_store_b32 v[8:9], v12 offset:144
	flat_load_b32 v12, v[4:5] offset:16
	flat_load_b32 v20, v[6:7] offset:20
	s_waitcnt vmcnt(0) lgkmcnt(0)
	v_dot4_i32_iu8 v12, v12, v20, v13 neg_lo:[1,1,0]
	flat_store_b32 v[8:9], v12 offset:148
	flat_load_b32 v12, v[4:5] offset:16
	flat_load_b32 v13, v[6:7] offset:24
	;; [unrolled: 5-line block ×8, first 2 shown]
	s_clause 0x1
	flat_load_b128 v[12:15], v[8:9] offset:208
	flat_load_b128 v[16:19], v[8:9] offset:240
	s_waitcnt vmcnt(1) lgkmcnt(1)
	v_dot4_i32_iu8 v12, v20, v21, v12 neg_lo:[1,1,0]
	flat_store_b32 v[8:9], v12 offset:208
	flat_load_b32 v12, v[4:5] offset:24
	flat_load_b32 v20, v[6:7] offset:20
	s_waitcnt vmcnt(0) lgkmcnt(0)
	v_dot4_i32_iu8 v12, v12, v20, v13 neg_lo:[1,1,0]
	flat_store_b32 v[8:9], v12 offset:212
	flat_load_b32 v12, v[4:5] offset:24
	flat_load_b32 v13, v[6:7] offset:24
	;; [unrolled: 5-line block ×7, first 2 shown]
	s_waitcnt vmcnt(0) lgkmcnt(0)
	v_dot4_i32_iu8 v12, v12, v13, v19 neg_lo:[1,1,0]
	flat_store_b32 v[8:9], v12 offset:252
	flat_load_b32 v14, v[0:1] offset:48
	flat_load_b64 v[12:13], v[10:11]
	s_waitcnt vmcnt(1) lgkmcnt(1)
	v_ashrrev_i32_e32 v15, 31, v14
	s_waitcnt vmcnt(0) lgkmcnt(0)
	v_add_co_u32 v12, vcc_lo, v12, v14
	s_delay_alu instid0(VALU_DEP_2)
	v_add_co_ci_u32_e32 v13, vcc_lo, v13, v15, vcc_lo
	flat_load_b128 v[12:15], v[12:13] offset:1792
	s_waitcnt vmcnt(0) lgkmcnt(0)
	flat_store_b128 v[6:7], v[12:15] offset:16
	flat_load_b32 v14, v[0:1] offset:16
	flat_load_b64 v[12:13], v[2:3]
	s_waitcnt vmcnt(1) lgkmcnt(1)
	v_ashrrev_i32_e32 v15, 31, v14
	s_waitcnt vmcnt(0) lgkmcnt(0)
	v_add_co_u32 v12, vcc_lo, v12, v14
	s_delay_alu instid0(VALU_DEP_2)
	v_add_co_ci_u32_e32 v13, vcc_lo, v13, v15, vcc_lo
	flat_load_b128 v[12:15], v[12:13] offset:1792
	flat_load_b32 v20, v[4:5]
	s_waitcnt vmcnt(1) lgkmcnt(1)
	flat_store_b128 v[4:5], v[12:15] offset:16
	flat_load_b32 v21, v[6:7]
	s_clause 0x1
	flat_load_b128 v[12:15], v[8:9]
	flat_load_b128 v[16:19], v[8:9] offset:16
	s_waitcnt vmcnt(1) lgkmcnt(1)
	v_dot4_i32_iu8 v12, v20, v21, v12 neg_lo:[1,1,0]
	flat_store_b32 v[8:9], v12
	flat_load_b32 v12, v[4:5]
	flat_load_b32 v20, v[6:7] offset:4
	s_waitcnt vmcnt(0) lgkmcnt(0)
	v_dot4_i32_iu8 v12, v12, v20, v13 neg_lo:[1,1,0]
	flat_store_b32 v[8:9], v12 offset:4
	flat_load_b32 v12, v[4:5]
	flat_load_b32 v13, v[6:7] offset:8
	s_waitcnt vmcnt(0) lgkmcnt(0)
	v_dot4_i32_iu8 v12, v12, v13, v14 neg_lo:[1,1,0]
	flat_store_b32 v[8:9], v12 offset:8
	flat_load_b32 v12, v[4:5]
	flat_load_b32 v13, v[6:7] offset:12
	s_waitcnt vmcnt(0) lgkmcnt(0)
	v_dot4_i32_iu8 v12, v12, v13, v15 neg_lo:[1,1,0]
	flat_store_b32 v[8:9], v12 offset:12
	flat_load_b32 v24, v[4:5] offset:4
	flat_load_b32 v25, v[6:7]
	s_clause 0x1
	flat_load_b128 v[12:15], v[8:9] offset:32
	flat_load_b128 v[20:23], v[8:9] offset:48
	s_waitcnt vmcnt(1) lgkmcnt(1)
	v_dot4_i32_iu8 v12, v24, v25, v12 neg_lo:[1,1,0]
	flat_store_b32 v[8:9], v12 offset:32
	flat_load_b32 v12, v[4:5] offset:4
	flat_load_b32 v24, v[6:7] offset:4
	s_waitcnt vmcnt(0) lgkmcnt(0)
	v_dot4_i32_iu8 v12, v12, v24, v13 neg_lo:[1,1,0]
	flat_store_b32 v[8:9], v12 offset:36
	flat_load_b32 v12, v[4:5] offset:4
	flat_load_b32 v13, v[6:7] offset:8
	s_waitcnt vmcnt(0) lgkmcnt(0)
	v_dot4_i32_iu8 v12, v12, v13, v14 neg_lo:[1,1,0]
	flat_store_b32 v[8:9], v12 offset:40
	flat_load_b32 v12, v[4:5] offset:4
	flat_load_b32 v13, v[6:7] offset:12
	s_waitcnt vmcnt(0) lgkmcnt(0)
	v_dot4_i32_iu8 v12, v12, v13, v15 neg_lo:[1,1,0]
	flat_store_b32 v[8:9], v12 offset:44
	flat_load_b32 v28, v[4:5] offset:8
	flat_load_b32 v29, v[6:7]
	s_clause 0x1
	flat_load_b128 v[12:15], v[8:9] offset:64
	flat_load_b128 v[24:27], v[8:9] offset:80
	s_waitcnt vmcnt(1) lgkmcnt(1)
	v_dot4_i32_iu8 v12, v28, v29, v12 neg_lo:[1,1,0]
	flat_store_b32 v[8:9], v12 offset:64
	flat_load_b32 v12, v[4:5] offset:8
	flat_load_b32 v28, v[6:7] offset:4
	s_waitcnt vmcnt(0) lgkmcnt(0)
	v_dot4_i32_iu8 v12, v12, v28, v13 neg_lo:[1,1,0]
	flat_store_b32 v[8:9], v12 offset:68
	flat_load_b32 v12, v[4:5] offset:8
	flat_load_b32 v13, v[6:7] offset:8
	s_waitcnt vmcnt(0) lgkmcnt(0)
	v_dot4_i32_iu8 v12, v12, v13, v14 neg_lo:[1,1,0]
	flat_store_b32 v[8:9], v12 offset:72
	flat_load_b32 v12, v[4:5] offset:8
	flat_load_b32 v13, v[6:7] offset:12
	s_waitcnt vmcnt(0) lgkmcnt(0)
	v_dot4_i32_iu8 v12, v12, v13, v15 neg_lo:[1,1,0]
	flat_store_b32 v[8:9], v12 offset:76
	;; [unrolled: 23-line block ×3, first 2 shown]
	flat_load_b32 v12, v[4:5]
	flat_load_b32 v13, v[6:7] offset:16
	s_waitcnt vmcnt(0) lgkmcnt(0)
	v_dot4_i32_iu8 v12, v12, v13, v16 neg_lo:[1,1,0]
	flat_store_b32 v[8:9], v12 offset:16
	flat_load_b32 v12, v[4:5]
	flat_load_b32 v13, v[6:7] offset:20
	s_waitcnt vmcnt(0) lgkmcnt(0)
	v_dot4_i32_iu8 v12, v12, v13, v17 neg_lo:[1,1,0]
	flat_store_b32 v[8:9], v12 offset:20
	;; [unrolled: 5-line block ×4, first 2 shown]
	flat_load_b32 v12, v[4:5] offset:4
	flat_load_b32 v13, v[6:7] offset:16
	s_waitcnt vmcnt(0) lgkmcnt(0)
	v_dot4_i32_iu8 v12, v12, v13, v20 neg_lo:[1,1,0]
	flat_store_b32 v[8:9], v12 offset:48
	flat_load_b32 v12, v[4:5] offset:4
	flat_load_b32 v13, v[6:7] offset:20
	s_waitcnt vmcnt(0) lgkmcnt(0)
	v_dot4_i32_iu8 v12, v12, v13, v21 neg_lo:[1,1,0]
	flat_store_b32 v[8:9], v12 offset:52
	;; [unrolled: 5-line block ×12, first 2 shown]
	flat_load_b32 v14, v[0:1] offset:16
	flat_load_b64 v[12:13], v[2:3]
	s_waitcnt vmcnt(1) lgkmcnt(1)
	v_ashrrev_i32_e32 v15, 31, v14
	s_waitcnt vmcnt(0) lgkmcnt(0)
	v_add_co_u32 v12, vcc_lo, v12, v14
	s_delay_alu instid0(VALU_DEP_2)
	v_add_co_ci_u32_e32 v13, vcc_lo, v13, v15, vcc_lo
	flat_load_b128 v[12:15], v[12:13] offset:2048
	flat_load_b32 v20, v[4:5] offset:16
	s_waitcnt vmcnt(1) lgkmcnt(1)
	flat_store_b128 v[4:5], v[12:15]
	flat_load_b32 v21, v[6:7]
	s_clause 0x1
	flat_load_b128 v[12:15], v[8:9] offset:128
	flat_load_b128 v[16:19], v[8:9] offset:160
	s_waitcnt vmcnt(1) lgkmcnt(1)
	v_dot4_i32_iu8 v12, v20, v21, v12 neg_lo:[1,1,0]
	flat_store_b32 v[8:9], v12 offset:128
	flat_load_b32 v12, v[4:5] offset:16
	flat_load_b32 v20, v[6:7] offset:4
	s_waitcnt vmcnt(0) lgkmcnt(0)
	v_dot4_i32_iu8 v12, v12, v20, v13 neg_lo:[1,1,0]
	flat_store_b32 v[8:9], v12 offset:132
	flat_load_b32 v12, v[4:5] offset:16
	flat_load_b32 v13, v[6:7] offset:8
	;; [unrolled: 5-line block ×3, first 2 shown]
	s_waitcnt vmcnt(0) lgkmcnt(0)
	v_dot4_i32_iu8 v12, v12, v13, v15 neg_lo:[1,1,0]
	flat_store_b32 v[8:9], v12 offset:140
	flat_load_b32 v12, v[4:5] offset:20
	flat_load_b32 v13, v[6:7]
	s_waitcnt vmcnt(0) lgkmcnt(0)
	v_dot4_i32_iu8 v12, v12, v13, v16 neg_lo:[1,1,0]
	flat_store_b32 v[8:9], v12 offset:160
	flat_load_b32 v12, v[4:5] offset:20
	flat_load_b32 v13, v[6:7] offset:4
	s_waitcnt vmcnt(0) lgkmcnt(0)
	v_dot4_i32_iu8 v12, v12, v13, v17 neg_lo:[1,1,0]
	flat_store_b32 v[8:9], v12 offset:164
	flat_load_b32 v12, v[4:5] offset:20
	flat_load_b32 v13, v[6:7] offset:8
	;; [unrolled: 5-line block ×3, first 2 shown]
	s_waitcnt vmcnt(0) lgkmcnt(0)
	v_dot4_i32_iu8 v12, v12, v13, v19 neg_lo:[1,1,0]
	flat_store_b32 v[8:9], v12 offset:172
	flat_load_b32 v20, v[4:5] offset:24
	flat_load_b32 v21, v[6:7]
	s_clause 0x1
	flat_load_b128 v[12:15], v[8:9] offset:192
	flat_load_b128 v[16:19], v[8:9] offset:224
	s_waitcnt vmcnt(1) lgkmcnt(1)
	v_dot4_i32_iu8 v12, v20, v21, v12 neg_lo:[1,1,0]
	flat_store_b32 v[8:9], v12 offset:192
	flat_load_b32 v12, v[4:5] offset:24
	flat_load_b32 v20, v[6:7] offset:4
	s_waitcnt vmcnt(0) lgkmcnt(0)
	v_dot4_i32_iu8 v12, v12, v20, v13 neg_lo:[1,1,0]
	flat_store_b32 v[8:9], v12 offset:196
	flat_load_b32 v12, v[4:5] offset:24
	flat_load_b32 v13, v[6:7] offset:8
	;; [unrolled: 5-line block ×3, first 2 shown]
	s_waitcnt vmcnt(0) lgkmcnt(0)
	v_dot4_i32_iu8 v12, v12, v13, v15 neg_lo:[1,1,0]
	flat_store_b32 v[8:9], v12 offset:204
	flat_load_b32 v12, v[4:5] offset:28
	flat_load_b32 v13, v[6:7]
	s_waitcnt vmcnt(0) lgkmcnt(0)
	v_dot4_i32_iu8 v12, v12, v13, v16 neg_lo:[1,1,0]
	flat_store_b32 v[8:9], v12 offset:224
	flat_load_b32 v12, v[4:5] offset:28
	flat_load_b32 v13, v[6:7] offset:4
	s_waitcnt vmcnt(0) lgkmcnt(0)
	v_dot4_i32_iu8 v12, v12, v13, v17 neg_lo:[1,1,0]
	flat_store_b32 v[8:9], v12 offset:228
	flat_load_b32 v12, v[4:5] offset:28
	flat_load_b32 v13, v[6:7] offset:8
	;; [unrolled: 5-line block ×3, first 2 shown]
	s_waitcnt vmcnt(0) lgkmcnt(0)
	v_dot4_i32_iu8 v12, v12, v13, v19 neg_lo:[1,1,0]
	flat_store_b32 v[8:9], v12 offset:236
	flat_load_b32 v14, v[0:1] offset:48
	flat_load_b64 v[12:13], v[10:11]
	s_waitcnt vmcnt(1) lgkmcnt(1)
	v_ashrrev_i32_e32 v15, 31, v14
	s_waitcnt vmcnt(0) lgkmcnt(0)
	v_add_co_u32 v12, vcc_lo, v12, v14
	s_delay_alu instid0(VALU_DEP_2)
	v_add_co_ci_u32_e32 v13, vcc_lo, v13, v15, vcc_lo
	flat_load_b128 v[12:15], v[12:13] offset:2048
	flat_load_b32 v20, v[6:7] offset:16
	s_waitcnt vmcnt(1) lgkmcnt(1)
	flat_store_b128 v[6:7], v[12:15]
	flat_load_b32 v21, v[4:5] offset:16
	s_clause 0x1
	flat_load_b128 v[12:15], v[8:9] offset:144
	flat_load_b128 v[16:19], v[8:9] offset:176
	s_waitcnt vmcnt(1) lgkmcnt(1)
	v_dot4_i32_iu8 v12, v21, v20, v12 neg_lo:[1,1,0]
	flat_store_b32 v[8:9], v12 offset:144
	flat_load_b32 v12, v[4:5] offset:16
	flat_load_b32 v20, v[6:7] offset:20
	s_waitcnt vmcnt(0) lgkmcnt(0)
	v_dot4_i32_iu8 v12, v12, v20, v13 neg_lo:[1,1,0]
	flat_store_b32 v[8:9], v12 offset:148
	flat_load_b32 v12, v[4:5] offset:16
	flat_load_b32 v13, v[6:7] offset:24
	;; [unrolled: 5-line block ×8, first 2 shown]
	s_clause 0x1
	flat_load_b128 v[12:15], v[8:9] offset:208
	flat_load_b128 v[16:19], v[8:9] offset:240
	s_waitcnt vmcnt(1) lgkmcnt(1)
	v_dot4_i32_iu8 v12, v20, v21, v12 neg_lo:[1,1,0]
	flat_store_b32 v[8:9], v12 offset:208
	flat_load_b32 v12, v[4:5] offset:24
	flat_load_b32 v20, v[6:7] offset:20
	s_waitcnt vmcnt(0) lgkmcnt(0)
	v_dot4_i32_iu8 v12, v12, v20, v13 neg_lo:[1,1,0]
	flat_store_b32 v[8:9], v12 offset:212
	flat_load_b32 v12, v[4:5] offset:24
	flat_load_b32 v13, v[6:7] offset:24
	;; [unrolled: 5-line block ×7, first 2 shown]
	s_waitcnt vmcnt(0) lgkmcnt(0)
	v_dot4_i32_iu8 v12, v12, v13, v19 neg_lo:[1,1,0]
	flat_store_b32 v[8:9], v12 offset:252
	flat_load_b32 v14, v[0:1] offset:48
	flat_load_b64 v[12:13], v[10:11]
	s_waitcnt vmcnt(1) lgkmcnt(1)
	v_ashrrev_i32_e32 v15, 31, v14
	s_waitcnt vmcnt(0) lgkmcnt(0)
	v_add_co_u32 v12, vcc_lo, v12, v14
	s_delay_alu instid0(VALU_DEP_2)
	v_add_co_ci_u32_e32 v13, vcc_lo, v13, v15, vcc_lo
	flat_load_b128 v[12:15], v[12:13] offset:2304
	s_waitcnt vmcnt(0) lgkmcnt(0)
	flat_store_b128 v[6:7], v[12:15] offset:16
	flat_load_b32 v14, v[0:1] offset:16
	flat_load_b64 v[12:13], v[2:3]
	s_waitcnt vmcnt(1) lgkmcnt(1)
	v_ashrrev_i32_e32 v15, 31, v14
	s_waitcnt vmcnt(0) lgkmcnt(0)
	v_add_co_u32 v12, vcc_lo, v12, v14
	s_delay_alu instid0(VALU_DEP_2)
	v_add_co_ci_u32_e32 v13, vcc_lo, v13, v15, vcc_lo
	flat_load_b128 v[12:15], v[12:13] offset:2304
	flat_load_b32 v20, v[4:5]
	s_waitcnt vmcnt(1) lgkmcnt(1)
	flat_store_b128 v[4:5], v[12:15] offset:16
	flat_load_b32 v21, v[6:7]
	s_clause 0x1
	flat_load_b128 v[12:15], v[8:9]
	flat_load_b128 v[16:19], v[8:9] offset:16
	s_waitcnt vmcnt(1) lgkmcnt(1)
	v_dot4_i32_iu8 v12, v20, v21, v12 neg_lo:[1,1,0]
	flat_store_b32 v[8:9], v12
	flat_load_b32 v12, v[4:5]
	flat_load_b32 v20, v[6:7] offset:4
	s_waitcnt vmcnt(0) lgkmcnt(0)
	v_dot4_i32_iu8 v12, v12, v20, v13 neg_lo:[1,1,0]
	flat_store_b32 v[8:9], v12 offset:4
	flat_load_b32 v12, v[4:5]
	flat_load_b32 v13, v[6:7] offset:8
	s_waitcnt vmcnt(0) lgkmcnt(0)
	v_dot4_i32_iu8 v12, v12, v13, v14 neg_lo:[1,1,0]
	flat_store_b32 v[8:9], v12 offset:8
	;; [unrolled: 5-line block ×3, first 2 shown]
	flat_load_b32 v24, v[4:5] offset:4
	flat_load_b32 v25, v[6:7]
	s_clause 0x1
	flat_load_b128 v[12:15], v[8:9] offset:32
	flat_load_b128 v[20:23], v[8:9] offset:48
	s_waitcnt vmcnt(1) lgkmcnt(1)
	v_dot4_i32_iu8 v12, v24, v25, v12 neg_lo:[1,1,0]
	flat_store_b32 v[8:9], v12 offset:32
	flat_load_b32 v12, v[4:5] offset:4
	flat_load_b32 v24, v[6:7] offset:4
	s_waitcnt vmcnt(0) lgkmcnt(0)
	v_dot4_i32_iu8 v12, v12, v24, v13 neg_lo:[1,1,0]
	flat_store_b32 v[8:9], v12 offset:36
	flat_load_b32 v12, v[4:5] offset:4
	flat_load_b32 v13, v[6:7] offset:8
	;; [unrolled: 5-line block ×3, first 2 shown]
	s_waitcnt vmcnt(0) lgkmcnt(0)
	v_dot4_i32_iu8 v24, v12, v13, v15 neg_lo:[1,1,0]
	flat_load_b128 v[12:15], v[8:9] offset:64
	flat_store_b32 v[8:9], v24 offset:44
	flat_load_b32 v24, v[4:5] offset:8
	flat_load_b32 v25, v[6:7]
	s_waitcnt vmcnt(0) lgkmcnt(0)
	v_dot4_i32_iu8 v12, v24, v25, v12 neg_lo:[1,1,0]
	flat_store_b32 v[8:9], v12 offset:64
	flat_load_b32 v12, v[4:5] offset:8
	flat_load_b32 v24, v[6:7] offset:4
	s_waitcnt vmcnt(0) lgkmcnt(0)
	v_dot4_i32_iu8 v12, v12, v24, v13 neg_lo:[1,1,0]
	flat_store_b32 v[8:9], v12 offset:68
	flat_load_b32 v12, v[4:5] offset:8
	flat_load_b32 v13, v[6:7] offset:8
	;; [unrolled: 5-line block ×3, first 2 shown]
	s_waitcnt vmcnt(0) lgkmcnt(0)
	v_dot4_i32_iu8 v24, v12, v13, v15 neg_lo:[1,1,0]
	flat_load_b128 v[12:15], v[8:9] offset:96
	flat_store_b32 v[8:9], v24 offset:76
	flat_load_b32 v24, v[4:5] offset:12
	flat_load_b32 v25, v[6:7]
	s_waitcnt vmcnt(0) lgkmcnt(0)
	v_dot4_i32_iu8 v12, v24, v25, v12 neg_lo:[1,1,0]
	flat_store_b32 v[8:9], v12 offset:96
	flat_load_b32 v12, v[4:5] offset:12
	flat_load_b32 v24, v[6:7] offset:4
	s_waitcnt vmcnt(0) lgkmcnt(0)
	v_dot4_i32_iu8 v12, v12, v24, v13 neg_lo:[1,1,0]
	flat_store_b32 v[8:9], v12 offset:100
	flat_load_b32 v12, v[4:5] offset:12
	flat_load_b32 v13, v[6:7] offset:8
	s_waitcnt vmcnt(0) lgkmcnt(0)
	v_dot4_i32_iu8 v12, v12, v13, v14 neg_lo:[1,1,0]
	flat_store_b32 v[8:9], v12 offset:104
	flat_load_b32 v12, v[4:5] offset:12
	flat_load_b32 v13, v[6:7] offset:12
	s_waitcnt vmcnt(0) lgkmcnt(0)
	v_dot4_i32_iu8 v12, v12, v13, v15 neg_lo:[1,1,0]
	flat_store_b32 v[8:9], v12 offset:108
	flat_load_b32 v12, v[4:5]
	flat_load_b32 v13, v[6:7] offset:16
	s_waitcnt vmcnt(0) lgkmcnt(0)
	v_dot4_i32_iu8 v12, v12, v13, v16 neg_lo:[1,1,0]
	flat_store_b32 v[8:9], v12 offset:16
	flat_load_b32 v12, v[4:5]
	flat_load_b32 v13, v[6:7] offset:20
	;; [unrolled: 5-line block ×4, first 2 shown]
	s_waitcnt vmcnt(0) lgkmcnt(0)
	v_dot4_i32_iu8 v12, v12, v13, v19 neg_lo:[1,1,0]
	flat_store_b32 v[8:9], v12 offset:28
	flat_load_b32 v12, v[4:5] offset:4
	flat_load_b32 v13, v[6:7] offset:16
	s_waitcnt vmcnt(0) lgkmcnt(0)
	v_dot4_i32_iu8 v12, v12, v13, v20 neg_lo:[1,1,0]
	flat_store_b32 v[8:9], v12 offset:48
	flat_load_b32 v12, v[4:5] offset:4
	flat_load_b32 v13, v[6:7] offset:20
	;; [unrolled: 5-line block ×4, first 2 shown]
	s_waitcnt vmcnt(0) lgkmcnt(0)
	v_dot4_i32_iu8 v16, v12, v13, v23 neg_lo:[1,1,0]
	flat_load_b128 v[12:15], v[8:9] offset:80
	flat_store_b32 v[8:9], v16 offset:60
	flat_load_b32 v16, v[4:5] offset:8
	flat_load_b32 v17, v[6:7] offset:16
	s_waitcnt vmcnt(0) lgkmcnt(0)
	v_dot4_i32_iu8 v12, v16, v17, v12 neg_lo:[1,1,0]
	flat_store_b32 v[8:9], v12 offset:80
	flat_load_b32 v12, v[4:5] offset:8
	flat_load_b32 v16, v[6:7] offset:20
	s_waitcnt vmcnt(0) lgkmcnt(0)
	v_dot4_i32_iu8 v12, v12, v16, v13 neg_lo:[1,1,0]
	;; [unrolled: 5-line block ×4, first 2 shown]
	flat_load_b128 v[12:15], v[8:9] offset:112
	flat_store_b32 v[8:9], v16 offset:92
	flat_load_b32 v16, v[4:5] offset:12
	flat_load_b32 v17, v[6:7] offset:16
	s_waitcnt vmcnt(0) lgkmcnt(0)
	v_dot4_i32_iu8 v12, v16, v17, v12 neg_lo:[1,1,0]
	flat_store_b32 v[8:9], v12 offset:112
	flat_load_b32 v12, v[4:5] offset:12
	flat_load_b32 v16, v[6:7] offset:20
	s_waitcnt vmcnt(0) lgkmcnt(0)
	v_dot4_i32_iu8 v12, v12, v16, v13 neg_lo:[1,1,0]
	;; [unrolled: 5-line block ×4, first 2 shown]
	flat_store_b32 v[8:9], v12 offset:124
	flat_load_b32 v14, v[0:1] offset:16
	flat_load_b64 v[12:13], v[2:3]
	s_waitcnt vmcnt(1) lgkmcnt(1)
	v_ashrrev_i32_e32 v15, 31, v14
	s_waitcnt vmcnt(0) lgkmcnt(0)
	v_add_co_u32 v12, vcc_lo, v12, v14
	s_delay_alu instid0(VALU_DEP_2)
	v_add_co_ci_u32_e32 v13, vcc_lo, v13, v15, vcc_lo
	flat_load_b128 v[12:15], v[12:13] offset:2560
	flat_load_b32 v20, v[4:5] offset:16
	s_waitcnt vmcnt(1) lgkmcnt(1)
	flat_store_b128 v[4:5], v[12:15]
	flat_load_b32 v21, v[6:7]
	s_clause 0x1
	flat_load_b128 v[12:15], v[8:9] offset:128
	flat_load_b128 v[16:19], v[8:9] offset:160
	s_waitcnt vmcnt(1) lgkmcnt(1)
	v_dot4_i32_iu8 v12, v20, v21, v12 neg_lo:[1,1,0]
	flat_store_b32 v[8:9], v12 offset:128
	flat_load_b32 v12, v[4:5] offset:16
	flat_load_b32 v20, v[6:7] offset:4
	s_waitcnt vmcnt(0) lgkmcnt(0)
	v_dot4_i32_iu8 v12, v12, v20, v13 neg_lo:[1,1,0]
	flat_store_b32 v[8:9], v12 offset:132
	flat_load_b32 v12, v[4:5] offset:16
	flat_load_b32 v13, v[6:7] offset:8
	;; [unrolled: 5-line block ×3, first 2 shown]
	s_waitcnt vmcnt(0) lgkmcnt(0)
	v_dot4_i32_iu8 v12, v12, v13, v15 neg_lo:[1,1,0]
	flat_store_b32 v[8:9], v12 offset:140
	flat_load_b32 v12, v[4:5] offset:20
	flat_load_b32 v13, v[6:7]
	s_waitcnt vmcnt(0) lgkmcnt(0)
	v_dot4_i32_iu8 v12, v12, v13, v16 neg_lo:[1,1,0]
	flat_store_b32 v[8:9], v12 offset:160
	flat_load_b32 v12, v[4:5] offset:20
	flat_load_b32 v13, v[6:7] offset:4
	s_waitcnt vmcnt(0) lgkmcnt(0)
	v_dot4_i32_iu8 v12, v12, v13, v17 neg_lo:[1,1,0]
	flat_store_b32 v[8:9], v12 offset:164
	flat_load_b32 v12, v[4:5] offset:20
	flat_load_b32 v13, v[6:7] offset:8
	;; [unrolled: 5-line block ×3, first 2 shown]
	s_waitcnt vmcnt(0) lgkmcnt(0)
	v_dot4_i32_iu8 v12, v12, v13, v19 neg_lo:[1,1,0]
	flat_store_b32 v[8:9], v12 offset:172
	flat_load_b32 v20, v[4:5] offset:24
	flat_load_b32 v21, v[6:7]
	s_clause 0x1
	flat_load_b128 v[12:15], v[8:9] offset:192
	flat_load_b128 v[16:19], v[8:9] offset:224
	s_waitcnt vmcnt(1) lgkmcnt(1)
	v_dot4_i32_iu8 v12, v20, v21, v12 neg_lo:[1,1,0]
	flat_store_b32 v[8:9], v12 offset:192
	flat_load_b32 v12, v[4:5] offset:24
	flat_load_b32 v20, v[6:7] offset:4
	s_waitcnt vmcnt(0) lgkmcnt(0)
	v_dot4_i32_iu8 v12, v12, v20, v13 neg_lo:[1,1,0]
	flat_store_b32 v[8:9], v12 offset:196
	flat_load_b32 v12, v[4:5] offset:24
	flat_load_b32 v13, v[6:7] offset:8
	;; [unrolled: 5-line block ×3, first 2 shown]
	s_waitcnt vmcnt(0) lgkmcnt(0)
	v_dot4_i32_iu8 v12, v12, v13, v15 neg_lo:[1,1,0]
	flat_store_b32 v[8:9], v12 offset:204
	flat_load_b32 v12, v[4:5] offset:28
	flat_load_b32 v13, v[6:7]
	s_waitcnt vmcnt(0) lgkmcnt(0)
	v_dot4_i32_iu8 v12, v12, v13, v16 neg_lo:[1,1,0]
	flat_store_b32 v[8:9], v12 offset:224
	flat_load_b32 v12, v[4:5] offset:28
	flat_load_b32 v13, v[6:7] offset:4
	s_waitcnt vmcnt(0) lgkmcnt(0)
	v_dot4_i32_iu8 v12, v12, v13, v17 neg_lo:[1,1,0]
	flat_store_b32 v[8:9], v12 offset:228
	flat_load_b32 v12, v[4:5] offset:28
	flat_load_b32 v13, v[6:7] offset:8
	;; [unrolled: 5-line block ×3, first 2 shown]
	s_waitcnt vmcnt(0) lgkmcnt(0)
	v_dot4_i32_iu8 v12, v12, v13, v19 neg_lo:[1,1,0]
	flat_store_b32 v[8:9], v12 offset:236
	flat_load_b32 v14, v[0:1] offset:48
	flat_load_b64 v[12:13], v[10:11]
	s_waitcnt vmcnt(1) lgkmcnt(1)
	v_ashrrev_i32_e32 v15, 31, v14
	s_waitcnt vmcnt(0) lgkmcnt(0)
	v_add_co_u32 v12, vcc_lo, v12, v14
	s_delay_alu instid0(VALU_DEP_2)
	v_add_co_ci_u32_e32 v13, vcc_lo, v13, v15, vcc_lo
	flat_load_b128 v[12:15], v[12:13] offset:2560
	flat_load_b32 v20, v[6:7] offset:16
	s_waitcnt vmcnt(1) lgkmcnt(1)
	flat_store_b128 v[6:7], v[12:15]
	flat_load_b32 v21, v[4:5] offset:16
	s_clause 0x1
	flat_load_b128 v[12:15], v[8:9] offset:144
	flat_load_b128 v[16:19], v[8:9] offset:176
	s_waitcnt vmcnt(1) lgkmcnt(1)
	v_dot4_i32_iu8 v12, v21, v20, v12 neg_lo:[1,1,0]
	flat_store_b32 v[8:9], v12 offset:144
	flat_load_b32 v12, v[4:5] offset:16
	flat_load_b32 v20, v[6:7] offset:20
	s_waitcnt vmcnt(0) lgkmcnt(0)
	v_dot4_i32_iu8 v12, v12, v20, v13 neg_lo:[1,1,0]
	flat_store_b32 v[8:9], v12 offset:148
	flat_load_b32 v12, v[4:5] offset:16
	flat_load_b32 v13, v[6:7] offset:24
	;; [unrolled: 5-line block ×8, first 2 shown]
	s_clause 0x1
	flat_load_b128 v[12:15], v[8:9] offset:208
	flat_load_b128 v[16:19], v[8:9] offset:240
	s_waitcnt vmcnt(1) lgkmcnt(1)
	v_dot4_i32_iu8 v12, v20, v21, v12 neg_lo:[1,1,0]
	flat_store_b32 v[8:9], v12 offset:208
	flat_load_b32 v12, v[4:5] offset:24
	flat_load_b32 v20, v[6:7] offset:20
	s_waitcnt vmcnt(0) lgkmcnt(0)
	v_dot4_i32_iu8 v12, v12, v20, v13 neg_lo:[1,1,0]
	flat_store_b32 v[8:9], v12 offset:212
	flat_load_b32 v12, v[4:5] offset:24
	flat_load_b32 v13, v[6:7] offset:24
	s_waitcnt vmcnt(0) lgkmcnt(0)
	v_dot4_i32_iu8 v12, v12, v13, v14 neg_lo:[1,1,0]
	flat_store_b32 v[8:9], v12 offset:216
	flat_load_b32 v12, v[4:5] offset:24
	flat_load_b32 v13, v[6:7] offset:28
	s_waitcnt vmcnt(0) lgkmcnt(0)
	v_dot4_i32_iu8 v12, v12, v13, v15 neg_lo:[1,1,0]
	flat_store_b32 v[8:9], v12 offset:220
	flat_load_b32 v12, v[4:5] offset:28
	flat_load_b32 v13, v[6:7] offset:16
	s_waitcnt vmcnt(0) lgkmcnt(0)
	v_dot4_i32_iu8 v12, v12, v13, v16 neg_lo:[1,1,0]
	flat_store_b32 v[8:9], v12 offset:240
	flat_load_b32 v12, v[4:5] offset:28
	flat_load_b32 v13, v[6:7] offset:20
	s_waitcnt vmcnt(0) lgkmcnt(0)
	v_dot4_i32_iu8 v12, v12, v13, v17 neg_lo:[1,1,0]
	flat_store_b32 v[8:9], v12 offset:244
	flat_load_b32 v12, v[4:5] offset:28
	flat_load_b32 v13, v[6:7] offset:24
	s_waitcnt vmcnt(0) lgkmcnt(0)
	v_dot4_i32_iu8 v12, v12, v13, v18 neg_lo:[1,1,0]
	flat_store_b32 v[8:9], v12 offset:248
	flat_load_b32 v12, v[4:5] offset:28
	flat_load_b32 v13, v[6:7] offset:28
	s_waitcnt vmcnt(0) lgkmcnt(0)
	v_dot4_i32_iu8 v12, v12, v13, v19 neg_lo:[1,1,0]
	flat_store_b32 v[8:9], v12 offset:252
	flat_load_b32 v14, v[0:1] offset:48
	flat_load_b64 v[12:13], v[10:11]
	s_waitcnt vmcnt(1) lgkmcnt(1)
	v_ashrrev_i32_e32 v15, 31, v14
	s_waitcnt vmcnt(0) lgkmcnt(0)
	v_add_co_u32 v12, vcc_lo, v12, v14
	s_delay_alu instid0(VALU_DEP_2)
	v_add_co_ci_u32_e32 v13, vcc_lo, v13, v15, vcc_lo
	flat_load_b128 v[12:15], v[12:13] offset:2816
	s_waitcnt vmcnt(0) lgkmcnt(0)
	flat_store_b128 v[6:7], v[12:15] offset:16
	flat_load_b32 v14, v[0:1] offset:16
	flat_load_b64 v[12:13], v[2:3]
	s_waitcnt vmcnt(1) lgkmcnt(1)
	v_ashrrev_i32_e32 v15, 31, v14
	s_waitcnt vmcnt(0) lgkmcnt(0)
	v_add_co_u32 v12, vcc_lo, v12, v14
	s_delay_alu instid0(VALU_DEP_2)
	v_add_co_ci_u32_e32 v13, vcc_lo, v13, v15, vcc_lo
	flat_load_b128 v[12:15], v[12:13] offset:2816
	flat_load_b32 v20, v[4:5]
	s_waitcnt vmcnt(1) lgkmcnt(1)
	flat_store_b128 v[4:5], v[12:15] offset:16
	flat_load_b32 v21, v[6:7]
	s_clause 0x1
	flat_load_b128 v[12:15], v[8:9]
	flat_load_b128 v[16:19], v[8:9] offset:16
	s_waitcnt vmcnt(1) lgkmcnt(1)
	v_dot4_i32_iu8 v12, v20, v21, v12 neg_lo:[1,1,0]
	flat_store_b32 v[8:9], v12
	flat_load_b32 v12, v[4:5]
	flat_load_b32 v20, v[6:7] offset:4
	s_waitcnt vmcnt(0) lgkmcnt(0)
	v_dot4_i32_iu8 v12, v12, v20, v13 neg_lo:[1,1,0]
	flat_store_b32 v[8:9], v12 offset:4
	flat_load_b32 v12, v[4:5]
	flat_load_b32 v13, v[6:7] offset:8
	s_waitcnt vmcnt(0) lgkmcnt(0)
	v_dot4_i32_iu8 v12, v12, v13, v14 neg_lo:[1,1,0]
	flat_store_b32 v[8:9], v12 offset:8
	;; [unrolled: 5-line block ×3, first 2 shown]
	flat_load_b32 v24, v[4:5] offset:4
	flat_load_b32 v25, v[6:7]
	s_clause 0x1
	flat_load_b128 v[12:15], v[8:9] offset:32
	flat_load_b128 v[20:23], v[8:9] offset:48
	s_waitcnt vmcnt(1) lgkmcnt(1)
	v_dot4_i32_iu8 v12, v24, v25, v12 neg_lo:[1,1,0]
	flat_store_b32 v[8:9], v12 offset:32
	flat_load_b32 v12, v[4:5] offset:4
	flat_load_b32 v24, v[6:7] offset:4
	s_waitcnt vmcnt(0) lgkmcnt(0)
	v_dot4_i32_iu8 v12, v12, v24, v13 neg_lo:[1,1,0]
	flat_store_b32 v[8:9], v12 offset:36
	flat_load_b32 v12, v[4:5] offset:4
	flat_load_b32 v13, v[6:7] offset:8
	s_waitcnt vmcnt(0) lgkmcnt(0)
	v_dot4_i32_iu8 v12, v12, v13, v14 neg_lo:[1,1,0]
	flat_store_b32 v[8:9], v12 offset:40
	flat_load_b32 v12, v[4:5] offset:4
	flat_load_b32 v13, v[6:7] offset:12
	s_waitcnt vmcnt(0) lgkmcnt(0)
	v_dot4_i32_iu8 v12, v12, v13, v15 neg_lo:[1,1,0]
	flat_store_b32 v[8:9], v12 offset:44
	flat_load_b32 v28, v[4:5] offset:8
	flat_load_b32 v29, v[6:7]
	s_clause 0x1
	flat_load_b128 v[12:15], v[8:9] offset:64
	flat_load_b128 v[24:27], v[8:9] offset:80
	s_waitcnt vmcnt(1) lgkmcnt(1)
	v_dot4_i32_iu8 v12, v28, v29, v12 neg_lo:[1,1,0]
	flat_store_b32 v[8:9], v12 offset:64
	flat_load_b32 v12, v[4:5] offset:8
	flat_load_b32 v28, v[6:7] offset:4
	s_waitcnt vmcnt(0) lgkmcnt(0)
	v_dot4_i32_iu8 v12, v12, v28, v13 neg_lo:[1,1,0]
	flat_store_b32 v[8:9], v12 offset:68
	flat_load_b32 v12, v[4:5] offset:8
	flat_load_b32 v13, v[6:7] offset:8
	s_waitcnt vmcnt(0) lgkmcnt(0)
	v_dot4_i32_iu8 v12, v12, v13, v14 neg_lo:[1,1,0]
	flat_store_b32 v[8:9], v12 offset:72
	flat_load_b32 v12, v[4:5] offset:8
	flat_load_b32 v13, v[6:7] offset:12
	s_waitcnt vmcnt(0) lgkmcnt(0)
	v_dot4_i32_iu8 v12, v12, v13, v15 neg_lo:[1,1,0]
	flat_store_b32 v[8:9], v12 offset:76
	;; [unrolled: 23-line block ×3, first 2 shown]
	flat_load_b32 v12, v[4:5]
	flat_load_b32 v13, v[6:7] offset:16
	s_waitcnt vmcnt(0) lgkmcnt(0)
	v_dot4_i32_iu8 v12, v12, v13, v16 neg_lo:[1,1,0]
	flat_store_b32 v[8:9], v12 offset:16
	flat_load_b32 v12, v[4:5]
	flat_load_b32 v13, v[6:7] offset:20
	s_waitcnt vmcnt(0) lgkmcnt(0)
	v_dot4_i32_iu8 v12, v12, v13, v17 neg_lo:[1,1,0]
	flat_store_b32 v[8:9], v12 offset:20
	;; [unrolled: 5-line block ×4, first 2 shown]
	flat_load_b32 v12, v[4:5] offset:4
	flat_load_b32 v13, v[6:7] offset:16
	s_waitcnt vmcnt(0) lgkmcnt(0)
	v_dot4_i32_iu8 v12, v12, v13, v20 neg_lo:[1,1,0]
	flat_store_b32 v[8:9], v12 offset:48
	flat_load_b32 v12, v[4:5] offset:4
	flat_load_b32 v13, v[6:7] offset:20
	s_waitcnt vmcnt(0) lgkmcnt(0)
	v_dot4_i32_iu8 v12, v12, v13, v21 neg_lo:[1,1,0]
	flat_store_b32 v[8:9], v12 offset:52
	;; [unrolled: 5-line block ×12, first 2 shown]
	flat_load_b32 v14, v[0:1] offset:16
	flat_load_b64 v[12:13], v[2:3]
	s_waitcnt vmcnt(1) lgkmcnt(1)
	v_ashrrev_i32_e32 v15, 31, v14
	s_waitcnt vmcnt(0) lgkmcnt(0)
	v_add_co_u32 v12, vcc_lo, v12, v14
	s_delay_alu instid0(VALU_DEP_2)
	v_add_co_ci_u32_e32 v13, vcc_lo, v13, v15, vcc_lo
	flat_load_b128 v[12:15], v[12:13] offset:3072
	flat_load_b32 v20, v[4:5] offset:16
	s_waitcnt vmcnt(1) lgkmcnt(1)
	flat_store_b128 v[4:5], v[12:15]
	flat_load_b32 v21, v[6:7]
	s_clause 0x1
	flat_load_b128 v[12:15], v[8:9] offset:128
	flat_load_b128 v[16:19], v[8:9] offset:160
	s_waitcnt vmcnt(1) lgkmcnt(1)
	v_dot4_i32_iu8 v12, v20, v21, v12 neg_lo:[1,1,0]
	flat_store_b32 v[8:9], v12 offset:128
	flat_load_b32 v12, v[4:5] offset:16
	flat_load_b32 v20, v[6:7] offset:4
	s_waitcnt vmcnt(0) lgkmcnt(0)
	v_dot4_i32_iu8 v12, v12, v20, v13 neg_lo:[1,1,0]
	flat_store_b32 v[8:9], v12 offset:132
	flat_load_b32 v12, v[4:5] offset:16
	flat_load_b32 v13, v[6:7] offset:8
	;; [unrolled: 5-line block ×3, first 2 shown]
	s_waitcnt vmcnt(0) lgkmcnt(0)
	v_dot4_i32_iu8 v12, v12, v13, v15 neg_lo:[1,1,0]
	flat_store_b32 v[8:9], v12 offset:140
	flat_load_b32 v12, v[4:5] offset:20
	flat_load_b32 v13, v[6:7]
	s_waitcnt vmcnt(0) lgkmcnt(0)
	v_dot4_i32_iu8 v12, v12, v13, v16 neg_lo:[1,1,0]
	flat_store_b32 v[8:9], v12 offset:160
	flat_load_b32 v12, v[4:5] offset:20
	flat_load_b32 v13, v[6:7] offset:4
	s_waitcnt vmcnt(0) lgkmcnt(0)
	v_dot4_i32_iu8 v12, v12, v13, v17 neg_lo:[1,1,0]
	flat_store_b32 v[8:9], v12 offset:164
	flat_load_b32 v12, v[4:5] offset:20
	flat_load_b32 v13, v[6:7] offset:8
	;; [unrolled: 5-line block ×3, first 2 shown]
	s_waitcnt vmcnt(0) lgkmcnt(0)
	v_dot4_i32_iu8 v12, v12, v13, v19 neg_lo:[1,1,0]
	flat_store_b32 v[8:9], v12 offset:172
	flat_load_b32 v20, v[4:5] offset:24
	flat_load_b32 v21, v[6:7]
	s_clause 0x1
	flat_load_b128 v[12:15], v[8:9] offset:192
	flat_load_b128 v[16:19], v[8:9] offset:224
	s_waitcnt vmcnt(1) lgkmcnt(1)
	v_dot4_i32_iu8 v12, v20, v21, v12 neg_lo:[1,1,0]
	flat_store_b32 v[8:9], v12 offset:192
	flat_load_b32 v12, v[4:5] offset:24
	flat_load_b32 v20, v[6:7] offset:4
	s_waitcnt vmcnt(0) lgkmcnt(0)
	v_dot4_i32_iu8 v12, v12, v20, v13 neg_lo:[1,1,0]
	flat_store_b32 v[8:9], v12 offset:196
	flat_load_b32 v12, v[4:5] offset:24
	flat_load_b32 v13, v[6:7] offset:8
	;; [unrolled: 5-line block ×3, first 2 shown]
	s_waitcnt vmcnt(0) lgkmcnt(0)
	v_dot4_i32_iu8 v12, v12, v13, v15 neg_lo:[1,1,0]
	flat_store_b32 v[8:9], v12 offset:204
	flat_load_b32 v12, v[4:5] offset:28
	flat_load_b32 v13, v[6:7]
	s_waitcnt vmcnt(0) lgkmcnt(0)
	v_dot4_i32_iu8 v12, v12, v13, v16 neg_lo:[1,1,0]
	flat_store_b32 v[8:9], v12 offset:224
	flat_load_b32 v12, v[4:5] offset:28
	flat_load_b32 v13, v[6:7] offset:4
	s_waitcnt vmcnt(0) lgkmcnt(0)
	v_dot4_i32_iu8 v12, v12, v13, v17 neg_lo:[1,1,0]
	flat_store_b32 v[8:9], v12 offset:228
	flat_load_b32 v12, v[4:5] offset:28
	flat_load_b32 v13, v[6:7] offset:8
	;; [unrolled: 5-line block ×3, first 2 shown]
	s_waitcnt vmcnt(0) lgkmcnt(0)
	v_dot4_i32_iu8 v12, v12, v13, v19 neg_lo:[1,1,0]
	flat_store_b32 v[8:9], v12 offset:236
	flat_load_b32 v14, v[0:1] offset:48
	flat_load_b64 v[12:13], v[10:11]
	s_waitcnt vmcnt(1) lgkmcnt(1)
	v_ashrrev_i32_e32 v15, 31, v14
	s_waitcnt vmcnt(0) lgkmcnt(0)
	v_add_co_u32 v12, vcc_lo, v12, v14
	s_delay_alu instid0(VALU_DEP_2)
	v_add_co_ci_u32_e32 v13, vcc_lo, v13, v15, vcc_lo
	flat_load_b128 v[12:15], v[12:13] offset:3072
	flat_load_b32 v20, v[6:7] offset:16
	s_waitcnt vmcnt(1) lgkmcnt(1)
	flat_store_b128 v[6:7], v[12:15]
	flat_load_b32 v21, v[4:5] offset:16
	s_clause 0x1
	flat_load_b128 v[12:15], v[8:9] offset:144
	flat_load_b128 v[16:19], v[8:9] offset:176
	s_waitcnt vmcnt(1) lgkmcnt(1)
	v_dot4_i32_iu8 v12, v21, v20, v12 neg_lo:[1,1,0]
	flat_store_b32 v[8:9], v12 offset:144
	flat_load_b32 v12, v[4:5] offset:16
	flat_load_b32 v20, v[6:7] offset:20
	s_waitcnt vmcnt(0) lgkmcnt(0)
	v_dot4_i32_iu8 v12, v12, v20, v13 neg_lo:[1,1,0]
	flat_store_b32 v[8:9], v12 offset:148
	flat_load_b32 v12, v[4:5] offset:16
	flat_load_b32 v13, v[6:7] offset:24
	;; [unrolled: 5-line block ×8, first 2 shown]
	s_clause 0x1
	flat_load_b128 v[12:15], v[8:9] offset:208
	flat_load_b128 v[16:19], v[8:9] offset:240
	s_waitcnt vmcnt(1) lgkmcnt(1)
	v_dot4_i32_iu8 v12, v20, v21, v12 neg_lo:[1,1,0]
	flat_store_b32 v[8:9], v12 offset:208
	flat_load_b32 v12, v[4:5] offset:24
	flat_load_b32 v20, v[6:7] offset:20
	s_waitcnt vmcnt(0) lgkmcnt(0)
	v_dot4_i32_iu8 v12, v12, v20, v13 neg_lo:[1,1,0]
	flat_store_b32 v[8:9], v12 offset:212
	flat_load_b32 v12, v[4:5] offset:24
	flat_load_b32 v13, v[6:7] offset:24
	;; [unrolled: 5-line block ×7, first 2 shown]
	s_waitcnt vmcnt(0) lgkmcnt(0)
	v_dot4_i32_iu8 v12, v12, v13, v19 neg_lo:[1,1,0]
	flat_store_b32 v[8:9], v12 offset:252
	flat_load_b32 v14, v[0:1] offset:48
	flat_load_b64 v[12:13], v[10:11]
	s_waitcnt vmcnt(1) lgkmcnt(1)
	v_ashrrev_i32_e32 v15, 31, v14
	s_waitcnt vmcnt(0) lgkmcnt(0)
	v_add_co_u32 v12, vcc_lo, v12, v14
	s_delay_alu instid0(VALU_DEP_2)
	v_add_co_ci_u32_e32 v13, vcc_lo, v13, v15, vcc_lo
	flat_load_b128 v[12:15], v[12:13] offset:3328
	s_waitcnt vmcnt(0) lgkmcnt(0)
	flat_store_b128 v[6:7], v[12:15] offset:16
	flat_load_b32 v14, v[0:1] offset:16
	flat_load_b64 v[12:13], v[2:3]
	s_waitcnt vmcnt(1) lgkmcnt(1)
	v_ashrrev_i32_e32 v15, 31, v14
	s_waitcnt vmcnt(0) lgkmcnt(0)
	v_add_co_u32 v12, vcc_lo, v12, v14
	s_delay_alu instid0(VALU_DEP_2)
	v_add_co_ci_u32_e32 v13, vcc_lo, v13, v15, vcc_lo
	flat_load_b128 v[12:15], v[12:13] offset:3328
	flat_load_b32 v20, v[4:5]
	s_waitcnt vmcnt(1) lgkmcnt(1)
	flat_store_b128 v[4:5], v[12:15] offset:16
	flat_load_b32 v21, v[6:7]
	s_clause 0x1
	flat_load_b128 v[12:15], v[8:9]
	flat_load_b128 v[16:19], v[8:9] offset:16
	s_waitcnt vmcnt(1) lgkmcnt(1)
	v_dot4_i32_iu8 v12, v20, v21, v12 neg_lo:[1,1,0]
	flat_store_b32 v[8:9], v12
	flat_load_b32 v12, v[4:5]
	flat_load_b32 v20, v[6:7] offset:4
	s_waitcnt vmcnt(0) lgkmcnt(0)
	v_dot4_i32_iu8 v12, v12, v20, v13 neg_lo:[1,1,0]
	flat_store_b32 v[8:9], v12 offset:4
	flat_load_b32 v12, v[4:5]
	flat_load_b32 v13, v[6:7] offset:8
	s_waitcnt vmcnt(0) lgkmcnt(0)
	v_dot4_i32_iu8 v12, v12, v13, v14 neg_lo:[1,1,0]
	flat_store_b32 v[8:9], v12 offset:8
	;; [unrolled: 5-line block ×3, first 2 shown]
	flat_load_b32 v24, v[4:5] offset:4
	flat_load_b32 v25, v[6:7]
	s_clause 0x1
	flat_load_b128 v[12:15], v[8:9] offset:32
	flat_load_b128 v[20:23], v[8:9] offset:48
	s_waitcnt vmcnt(1) lgkmcnt(1)
	v_dot4_i32_iu8 v12, v24, v25, v12 neg_lo:[1,1,0]
	flat_store_b32 v[8:9], v12 offset:32
	flat_load_b32 v12, v[4:5] offset:4
	flat_load_b32 v24, v[6:7] offset:4
	s_waitcnt vmcnt(0) lgkmcnt(0)
	v_dot4_i32_iu8 v12, v12, v24, v13 neg_lo:[1,1,0]
	flat_store_b32 v[8:9], v12 offset:36
	flat_load_b32 v12, v[4:5] offset:4
	flat_load_b32 v13, v[6:7] offset:8
	s_waitcnt vmcnt(0) lgkmcnt(0)
	v_dot4_i32_iu8 v12, v12, v13, v14 neg_lo:[1,1,0]
	flat_store_b32 v[8:9], v12 offset:40
	flat_load_b32 v12, v[4:5] offset:4
	flat_load_b32 v13, v[6:7] offset:12
	s_waitcnt vmcnt(0) lgkmcnt(0)
	v_dot4_i32_iu8 v12, v12, v13, v15 neg_lo:[1,1,0]
	flat_store_b32 v[8:9], v12 offset:44
	flat_load_b32 v28, v[4:5] offset:8
	flat_load_b32 v29, v[6:7]
	s_clause 0x1
	flat_load_b128 v[12:15], v[8:9] offset:64
	flat_load_b128 v[24:27], v[8:9] offset:80
	s_waitcnt vmcnt(1) lgkmcnt(1)
	v_dot4_i32_iu8 v12, v28, v29, v12 neg_lo:[1,1,0]
	flat_store_b32 v[8:9], v12 offset:64
	flat_load_b32 v12, v[4:5] offset:8
	flat_load_b32 v28, v[6:7] offset:4
	s_waitcnt vmcnt(0) lgkmcnt(0)
	v_dot4_i32_iu8 v12, v12, v28, v13 neg_lo:[1,1,0]
	flat_store_b32 v[8:9], v12 offset:68
	flat_load_b32 v12, v[4:5] offset:8
	flat_load_b32 v13, v[6:7] offset:8
	s_waitcnt vmcnt(0) lgkmcnt(0)
	v_dot4_i32_iu8 v12, v12, v13, v14 neg_lo:[1,1,0]
	flat_store_b32 v[8:9], v12 offset:72
	flat_load_b32 v12, v[4:5] offset:8
	flat_load_b32 v13, v[6:7] offset:12
	s_waitcnt vmcnt(0) lgkmcnt(0)
	v_dot4_i32_iu8 v12, v12, v13, v15 neg_lo:[1,1,0]
	flat_store_b32 v[8:9], v12 offset:76
	;; [unrolled: 23-line block ×3, first 2 shown]
	flat_load_b32 v12, v[4:5]
	flat_load_b32 v13, v[6:7] offset:16
	s_waitcnt vmcnt(0) lgkmcnt(0)
	v_dot4_i32_iu8 v12, v12, v13, v16 neg_lo:[1,1,0]
	flat_store_b32 v[8:9], v12 offset:16
	flat_load_b32 v12, v[4:5]
	flat_load_b32 v13, v[6:7] offset:20
	s_waitcnt vmcnt(0) lgkmcnt(0)
	v_dot4_i32_iu8 v12, v12, v13, v17 neg_lo:[1,1,0]
	flat_store_b32 v[8:9], v12 offset:20
	;; [unrolled: 5-line block ×4, first 2 shown]
	flat_load_b32 v12, v[4:5] offset:4
	flat_load_b32 v13, v[6:7] offset:16
	s_waitcnt vmcnt(0) lgkmcnt(0)
	v_dot4_i32_iu8 v12, v12, v13, v20 neg_lo:[1,1,0]
	flat_store_b32 v[8:9], v12 offset:48
	flat_load_b32 v12, v[4:5] offset:4
	flat_load_b32 v13, v[6:7] offset:20
	s_waitcnt vmcnt(0) lgkmcnt(0)
	v_dot4_i32_iu8 v12, v12, v13, v21 neg_lo:[1,1,0]
	flat_store_b32 v[8:9], v12 offset:52
	;; [unrolled: 5-line block ×12, first 2 shown]
	flat_load_b32 v14, v[0:1] offset:16
	flat_load_b64 v[12:13], v[2:3]
	s_waitcnt vmcnt(1) lgkmcnt(1)
	v_ashrrev_i32_e32 v15, 31, v14
	s_waitcnt vmcnt(0) lgkmcnt(0)
	v_add_co_u32 v12, vcc_lo, v12, v14
	s_delay_alu instid0(VALU_DEP_2)
	v_add_co_ci_u32_e32 v13, vcc_lo, v13, v15, vcc_lo
	flat_load_b128 v[12:15], v[12:13] offset:3584
	flat_load_b32 v16, v[4:5] offset:16
	s_waitcnt vmcnt(1) lgkmcnt(1)
	flat_store_b128 v[4:5], v[12:15]
	flat_load_b32 v17, v[6:7]
	flat_load_b128 v[12:15], v[8:9] offset:128
	s_waitcnt vmcnt(0) lgkmcnt(0)
	v_dot4_i32_iu8 v12, v16, v17, v12 neg_lo:[1,1,0]
	flat_store_b32 v[8:9], v12 offset:128
	flat_load_b32 v12, v[4:5] offset:16
	flat_load_b32 v16, v[6:7] offset:4
	s_waitcnt vmcnt(0) lgkmcnt(0)
	v_dot4_i32_iu8 v12, v12, v16, v13 neg_lo:[1,1,0]
	flat_store_b32 v[8:9], v12 offset:132
	flat_load_b32 v12, v[4:5] offset:16
	flat_load_b32 v13, v[6:7] offset:8
	;; [unrolled: 5-line block ×3, first 2 shown]
	s_waitcnt vmcnt(0) lgkmcnt(0)
	v_dot4_i32_iu8 v12, v12, v13, v15 neg_lo:[1,1,0]
	flat_store_b32 v[8:9], v12 offset:140
	flat_load_b32 v16, v[4:5] offset:20
	flat_load_b32 v17, v[6:7]
	flat_load_b128 v[12:15], v[8:9] offset:160
	s_waitcnt vmcnt(0) lgkmcnt(0)
	v_dot4_i32_iu8 v12, v16, v17, v12 neg_lo:[1,1,0]
	flat_store_b32 v[8:9], v12 offset:160
	flat_load_b32 v12, v[4:5] offset:20
	flat_load_b32 v16, v[6:7] offset:4
	s_waitcnt vmcnt(0) lgkmcnt(0)
	v_dot4_i32_iu8 v12, v12, v16, v13 neg_lo:[1,1,0]
	flat_store_b32 v[8:9], v12 offset:164
	flat_load_b32 v12, v[4:5] offset:20
	flat_load_b32 v13, v[6:7] offset:8
	;; [unrolled: 5-line block ×3, first 2 shown]
	s_waitcnt vmcnt(0) lgkmcnt(0)
	v_dot4_i32_iu8 v12, v12, v13, v15 neg_lo:[1,1,0]
	flat_store_b32 v[8:9], v12 offset:172
	flat_load_b32 v20, v[4:5] offset:24
	flat_load_b32 v21, v[6:7]
	s_clause 0x1
	flat_load_b128 v[12:15], v[8:9] offset:192
	flat_load_b128 v[16:19], v[8:9] offset:224
	s_waitcnt vmcnt(1) lgkmcnt(1)
	v_dot4_i32_iu8 v12, v20, v21, v12 neg_lo:[1,1,0]
	flat_store_b32 v[8:9], v12 offset:192
	flat_load_b32 v12, v[4:5] offset:24
	flat_load_b32 v20, v[6:7] offset:4
	s_waitcnt vmcnt(0) lgkmcnt(0)
	v_dot4_i32_iu8 v12, v12, v20, v13 neg_lo:[1,1,0]
	flat_store_b32 v[8:9], v12 offset:196
	flat_load_b32 v12, v[4:5] offset:24
	flat_load_b32 v13, v[6:7] offset:8
	;; [unrolled: 5-line block ×3, first 2 shown]
	s_waitcnt vmcnt(0) lgkmcnt(0)
	v_dot4_i32_iu8 v12, v12, v13, v15 neg_lo:[1,1,0]
	flat_store_b32 v[8:9], v12 offset:204
	flat_load_b32 v12, v[4:5] offset:28
	flat_load_b32 v13, v[6:7]
	s_waitcnt vmcnt(0) lgkmcnt(0)
	v_dot4_i32_iu8 v12, v12, v13, v16 neg_lo:[1,1,0]
	flat_store_b32 v[8:9], v12 offset:224
	flat_load_b32 v12, v[4:5] offset:28
	flat_load_b32 v13, v[6:7] offset:4
	s_waitcnt vmcnt(0) lgkmcnt(0)
	v_dot4_i32_iu8 v12, v12, v13, v17 neg_lo:[1,1,0]
	flat_store_b32 v[8:9], v12 offset:228
	flat_load_b32 v12, v[4:5] offset:28
	flat_load_b32 v13, v[6:7] offset:8
	s_waitcnt vmcnt(0) lgkmcnt(0)
	v_dot4_i32_iu8 v12, v12, v13, v18 neg_lo:[1,1,0]
	flat_store_b32 v[8:9], v12 offset:232
	flat_load_b32 v12, v[4:5] offset:28
	flat_load_b32 v13, v[6:7] offset:12
	s_waitcnt vmcnt(0) lgkmcnt(0)
	v_dot4_i32_iu8 v12, v12, v13, v19 neg_lo:[1,1,0]
	flat_store_b32 v[8:9], v12 offset:236
	flat_load_b32 v14, v[0:1] offset:48
	flat_load_b64 v[12:13], v[10:11]
	s_waitcnt vmcnt(1) lgkmcnt(1)
	v_ashrrev_i32_e32 v15, 31, v14
	s_waitcnt vmcnt(0) lgkmcnt(0)
	v_add_co_u32 v12, vcc_lo, v12, v14
	s_delay_alu instid0(VALU_DEP_2)
	v_add_co_ci_u32_e32 v13, vcc_lo, v13, v15, vcc_lo
	flat_load_b128 v[12:15], v[12:13] offset:3584
	flat_load_b32 v20, v[6:7] offset:16
	s_waitcnt vmcnt(1) lgkmcnt(1)
	flat_store_b128 v[6:7], v[12:15]
	flat_load_b32 v21, v[4:5] offset:16
	s_clause 0x1
	flat_load_b128 v[12:15], v[8:9] offset:144
	flat_load_b128 v[16:19], v[8:9] offset:176
	s_waitcnt vmcnt(1) lgkmcnt(1)
	v_dot4_i32_iu8 v12, v21, v20, v12 neg_lo:[1,1,0]
	flat_store_b32 v[8:9], v12 offset:144
	flat_load_b32 v12, v[4:5] offset:16
	flat_load_b32 v20, v[6:7] offset:20
	s_waitcnt vmcnt(0) lgkmcnt(0)
	v_dot4_i32_iu8 v12, v12, v20, v13 neg_lo:[1,1,0]
	flat_store_b32 v[8:9], v12 offset:148
	flat_load_b32 v12, v[4:5] offset:16
	flat_load_b32 v13, v[6:7] offset:24
	;; [unrolled: 5-line block ×8, first 2 shown]
	s_clause 0x1
	flat_load_b128 v[12:15], v[8:9] offset:208
	flat_load_b128 v[16:19], v[8:9] offset:240
	s_waitcnt vmcnt(1) lgkmcnt(1)
	v_dot4_i32_iu8 v12, v20, v21, v12 neg_lo:[1,1,0]
	flat_store_b32 v[8:9], v12 offset:208
	flat_load_b32 v12, v[4:5] offset:24
	flat_load_b32 v20, v[6:7] offset:20
	s_waitcnt vmcnt(0) lgkmcnt(0)
	v_dot4_i32_iu8 v12, v12, v20, v13 neg_lo:[1,1,0]
	flat_store_b32 v[8:9], v12 offset:212
	flat_load_b32 v12, v[4:5] offset:24
	flat_load_b32 v13, v[6:7] offset:24
	;; [unrolled: 5-line block ×7, first 2 shown]
	s_waitcnt vmcnt(0) lgkmcnt(0)
	v_dot4_i32_iu8 v12, v12, v13, v19 neg_lo:[1,1,0]
	flat_store_b32 v[8:9], v12 offset:252
	flat_load_b32 v14, v[0:1] offset:48
	flat_load_b64 v[12:13], v[10:11]
	s_waitcnt vmcnt(1) lgkmcnt(1)
	v_ashrrev_i32_e32 v15, 31, v14
	s_waitcnt vmcnt(0) lgkmcnt(0)
	v_add_co_u32 v12, vcc_lo, v12, v14
	s_delay_alu instid0(VALU_DEP_2)
	v_add_co_ci_u32_e32 v13, vcc_lo, v13, v15, vcc_lo
	flat_load_b128 v[12:15], v[12:13] offset:3840
	s_waitcnt vmcnt(0) lgkmcnt(0)
	flat_store_b128 v[6:7], v[12:15] offset:16
	flat_load_b32 v14, v[0:1] offset:16
	flat_load_b64 v[12:13], v[2:3]
	s_waitcnt vmcnt(1) lgkmcnt(1)
	v_ashrrev_i32_e32 v15, 31, v14
	s_waitcnt vmcnt(0) lgkmcnt(0)
	v_add_co_u32 v12, vcc_lo, v12, v14
	s_delay_alu instid0(VALU_DEP_2)
	v_add_co_ci_u32_e32 v13, vcc_lo, v13, v15, vcc_lo
	flat_load_b128 v[12:15], v[12:13] offset:3840
	flat_load_b32 v20, v[4:5]
	s_waitcnt vmcnt(1) lgkmcnt(1)
	flat_store_b128 v[4:5], v[12:15] offset:16
	flat_load_b32 v21, v[6:7]
	s_clause 0x1
	flat_load_b128 v[12:15], v[8:9]
	flat_load_b128 v[16:19], v[8:9] offset:16
	s_waitcnt vmcnt(1) lgkmcnt(1)
	v_dot4_i32_iu8 v12, v20, v21, v12 neg_lo:[1,1,0]
	flat_store_b32 v[8:9], v12
	flat_load_b32 v12, v[4:5]
	flat_load_b32 v20, v[6:7] offset:4
	s_waitcnt vmcnt(0) lgkmcnt(0)
	v_dot4_i32_iu8 v12, v12, v20, v13 neg_lo:[1,1,0]
	flat_store_b32 v[8:9], v12 offset:4
	flat_load_b32 v12, v[4:5]
	flat_load_b32 v13, v[6:7] offset:8
	s_waitcnt vmcnt(0) lgkmcnt(0)
	v_dot4_i32_iu8 v12, v12, v13, v14 neg_lo:[1,1,0]
	flat_store_b32 v[8:9], v12 offset:8
	;; [unrolled: 5-line block ×3, first 2 shown]
	flat_load_b32 v24, v[4:5] offset:4
	flat_load_b32 v25, v[6:7]
	s_clause 0x1
	flat_load_b128 v[12:15], v[8:9] offset:32
	flat_load_b128 v[20:23], v[8:9] offset:48
	s_waitcnt vmcnt(1) lgkmcnt(1)
	v_dot4_i32_iu8 v12, v24, v25, v12 neg_lo:[1,1,0]
	flat_store_b32 v[8:9], v12 offset:32
	flat_load_b32 v12, v[4:5] offset:4
	flat_load_b32 v24, v[6:7] offset:4
	s_waitcnt vmcnt(0) lgkmcnt(0)
	v_dot4_i32_iu8 v12, v12, v24, v13 neg_lo:[1,1,0]
	flat_store_b32 v[8:9], v12 offset:36
	flat_load_b32 v12, v[4:5] offset:4
	flat_load_b32 v13, v[6:7] offset:8
	s_waitcnt vmcnt(0) lgkmcnt(0)
	v_dot4_i32_iu8 v12, v12, v13, v14 neg_lo:[1,1,0]
	flat_store_b32 v[8:9], v12 offset:40
	flat_load_b32 v12, v[4:5] offset:4
	flat_load_b32 v13, v[6:7] offset:12
	s_waitcnt vmcnt(0) lgkmcnt(0)
	v_dot4_i32_iu8 v12, v12, v13, v15 neg_lo:[1,1,0]
	flat_store_b32 v[8:9], v12 offset:44
	flat_load_b32 v28, v[4:5] offset:8
	flat_load_b32 v29, v[6:7]
	s_clause 0x1
	flat_load_b128 v[12:15], v[8:9] offset:64
	flat_load_b128 v[24:27], v[8:9] offset:80
	s_waitcnt vmcnt(1) lgkmcnt(1)
	v_dot4_i32_iu8 v12, v28, v29, v12 neg_lo:[1,1,0]
	flat_store_b32 v[8:9], v12 offset:64
	flat_load_b32 v12, v[4:5] offset:8
	flat_load_b32 v28, v[6:7] offset:4
	s_waitcnt vmcnt(0) lgkmcnt(0)
	v_dot4_i32_iu8 v12, v12, v28, v13 neg_lo:[1,1,0]
	flat_store_b32 v[8:9], v12 offset:68
	flat_load_b32 v12, v[4:5] offset:8
	flat_load_b32 v13, v[6:7] offset:8
	s_waitcnt vmcnt(0) lgkmcnt(0)
	v_dot4_i32_iu8 v12, v12, v13, v14 neg_lo:[1,1,0]
	flat_store_b32 v[8:9], v12 offset:72
	flat_load_b32 v12, v[4:5] offset:8
	flat_load_b32 v13, v[6:7] offset:12
	s_waitcnt vmcnt(0) lgkmcnt(0)
	v_dot4_i32_iu8 v12, v12, v13, v15 neg_lo:[1,1,0]
	flat_store_b32 v[8:9], v12 offset:76
	;; [unrolled: 23-line block ×3, first 2 shown]
	flat_load_b32 v12, v[4:5]
	flat_load_b32 v13, v[6:7] offset:16
	s_waitcnt vmcnt(0) lgkmcnt(0)
	v_dot4_i32_iu8 v12, v12, v13, v16 neg_lo:[1,1,0]
	flat_store_b32 v[8:9], v12 offset:16
	flat_load_b32 v12, v[4:5]
	flat_load_b32 v13, v[6:7] offset:20
	s_waitcnt vmcnt(0) lgkmcnt(0)
	v_dot4_i32_iu8 v12, v12, v13, v17 neg_lo:[1,1,0]
	flat_store_b32 v[8:9], v12 offset:20
	;; [unrolled: 5-line block ×4, first 2 shown]
	flat_load_b32 v12, v[4:5] offset:4
	flat_load_b32 v13, v[6:7] offset:16
	s_waitcnt vmcnt(0) lgkmcnt(0)
	v_dot4_i32_iu8 v12, v12, v13, v20 neg_lo:[1,1,0]
	flat_store_b32 v[8:9], v12 offset:48
	flat_load_b32 v12, v[4:5] offset:4
	flat_load_b32 v13, v[6:7] offset:20
	s_waitcnt vmcnt(0) lgkmcnt(0)
	v_dot4_i32_iu8 v12, v12, v13, v21 neg_lo:[1,1,0]
	flat_store_b32 v[8:9], v12 offset:52
	flat_load_b32 v12, v[4:5] offset:4
	flat_load_b32 v13, v[6:7] offset:24
	s_waitcnt vmcnt(0) lgkmcnt(0)
	v_dot4_i32_iu8 v12, v12, v13, v22 neg_lo:[1,1,0]
	flat_store_b32 v[8:9], v12 offset:56
	flat_load_b32 v12, v[4:5] offset:4
	flat_load_b32 v13, v[6:7] offset:28
	s_waitcnt vmcnt(0) lgkmcnt(0)
	v_dot4_i32_iu8 v12, v12, v13, v23 neg_lo:[1,1,0]
	flat_store_b32 v[8:9], v12 offset:60
	flat_load_b32 v12, v[4:5] offset:8
	flat_load_b32 v13, v[6:7] offset:16
	s_waitcnt vmcnt(0) lgkmcnt(0)
	v_dot4_i32_iu8 v12, v12, v13, v24 neg_lo:[1,1,0]
	flat_store_b32 v[8:9], v12 offset:80
	flat_load_b32 v12, v[4:5] offset:8
	flat_load_b32 v13, v[6:7] offset:20
	s_waitcnt vmcnt(0) lgkmcnt(0)
	v_dot4_i32_iu8 v12, v12, v13, v25 neg_lo:[1,1,0]
	flat_store_b32 v[8:9], v12 offset:84
	flat_load_b32 v12, v[4:5] offset:8
	flat_load_b32 v13, v[6:7] offset:24
	s_waitcnt vmcnt(0) lgkmcnt(0)
	v_dot4_i32_iu8 v12, v12, v13, v26 neg_lo:[1,1,0]
	flat_store_b32 v[8:9], v12 offset:88
	flat_load_b32 v12, v[4:5] offset:8
	flat_load_b32 v13, v[6:7] offset:28
	s_waitcnt vmcnt(0) lgkmcnt(0)
	v_dot4_i32_iu8 v12, v12, v13, v27 neg_lo:[1,1,0]
	flat_store_b32 v[8:9], v12 offset:92
	flat_load_b32 v12, v[4:5] offset:12
	flat_load_b32 v13, v[6:7] offset:16
	s_waitcnt vmcnt(0) lgkmcnt(0)
	v_dot4_i32_iu8 v12, v12, v13, v28 neg_lo:[1,1,0]
	flat_store_b32 v[8:9], v12 offset:112
	flat_load_b32 v12, v[4:5] offset:12
	flat_load_b32 v13, v[6:7] offset:20
	s_waitcnt vmcnt(0) lgkmcnt(0)
	v_dot4_i32_iu8 v12, v12, v13, v29 neg_lo:[1,1,0]
	flat_store_b32 v[8:9], v12 offset:116
	flat_load_b32 v12, v[4:5] offset:12
	flat_load_b32 v13, v[6:7] offset:24
	s_waitcnt vmcnt(0) lgkmcnt(0)
	v_dot4_i32_iu8 v12, v12, v13, v30 neg_lo:[1,1,0]
	flat_store_b32 v[8:9], v12 offset:120
	flat_load_b32 v12, v[4:5] offset:12
	flat_load_b32 v13, v[6:7] offset:28
	s_waitcnt vmcnt(0) lgkmcnt(0)
	v_dot4_i32_iu8 v12, v12, v13, v31 neg_lo:[1,1,0]
	flat_store_b32 v[8:9], v12 offset:124
	flat_load_b32 v14, v[0:1] offset:16
	flat_load_b64 v[12:13], v[2:3]
	s_waitcnt vmcnt(1) lgkmcnt(1)
	v_ashrrev_i32_e32 v15, 31, v14
	s_waitcnt vmcnt(0) lgkmcnt(0)
	v_add_co_u32 v12, vcc_lo, v12, v14
	s_delay_alu instid0(VALU_DEP_2) | instskip(NEXT) | instid1(VALU_DEP_2)
	v_add_co_ci_u32_e32 v13, vcc_lo, v13, v15, vcc_lo
	v_add_co_u32 v12, vcc_lo, 0x1000, v12
	s_delay_alu instid0(VALU_DEP_2)
	v_add_co_ci_u32_e32 v13, vcc_lo, 0, v13, vcc_lo
	flat_load_b128 v[12:15], v[12:13]
	flat_load_b32 v20, v[4:5] offset:16
	s_waitcnt vmcnt(1) lgkmcnt(1)
	flat_store_b128 v[4:5], v[12:15]
	flat_load_b32 v21, v[6:7]
	s_clause 0x1
	flat_load_b128 v[12:15], v[8:9] offset:128
	flat_load_b128 v[16:19], v[8:9] offset:160
	s_waitcnt vmcnt(1) lgkmcnt(1)
	v_dot4_i32_iu8 v12, v20, v21, v12 neg_lo:[1,1,0]
	flat_store_b32 v[8:9], v12 offset:128
	flat_load_b32 v12, v[4:5] offset:16
	flat_load_b32 v20, v[6:7] offset:4
	s_waitcnt vmcnt(0) lgkmcnt(0)
	v_dot4_i32_iu8 v12, v12, v20, v13 neg_lo:[1,1,0]
	flat_store_b32 v[8:9], v12 offset:132
	flat_load_b32 v12, v[4:5] offset:16
	flat_load_b32 v13, v[6:7] offset:8
	;; [unrolled: 5-line block ×3, first 2 shown]
	s_waitcnt vmcnt(0) lgkmcnt(0)
	v_dot4_i32_iu8 v12, v12, v13, v15 neg_lo:[1,1,0]
	flat_store_b32 v[8:9], v12 offset:140
	flat_load_b32 v12, v[4:5] offset:20
	flat_load_b32 v13, v[6:7]
	s_waitcnt vmcnt(0) lgkmcnt(0)
	v_dot4_i32_iu8 v12, v12, v13, v16 neg_lo:[1,1,0]
	flat_store_b32 v[8:9], v12 offset:160
	flat_load_b32 v12, v[4:5] offset:20
	flat_load_b32 v13, v[6:7] offset:4
	s_waitcnt vmcnt(0) lgkmcnt(0)
	v_dot4_i32_iu8 v12, v12, v13, v17 neg_lo:[1,1,0]
	flat_store_b32 v[8:9], v12 offset:164
	flat_load_b32 v12, v[4:5] offset:20
	flat_load_b32 v13, v[6:7] offset:8
	;; [unrolled: 5-line block ×3, first 2 shown]
	s_waitcnt vmcnt(0) lgkmcnt(0)
	v_dot4_i32_iu8 v12, v12, v13, v19 neg_lo:[1,1,0]
	flat_store_b32 v[8:9], v12 offset:172
	flat_load_b32 v20, v[4:5] offset:24
	flat_load_b32 v21, v[6:7]
	s_clause 0x1
	flat_load_b128 v[12:15], v[8:9] offset:192
	flat_load_b128 v[16:19], v[8:9] offset:224
	s_waitcnt vmcnt(1) lgkmcnt(1)
	v_dot4_i32_iu8 v12, v20, v21, v12 neg_lo:[1,1,0]
	flat_store_b32 v[8:9], v12 offset:192
	flat_load_b32 v12, v[4:5] offset:24
	flat_load_b32 v20, v[6:7] offset:4
	s_waitcnt vmcnt(0) lgkmcnt(0)
	v_dot4_i32_iu8 v12, v12, v20, v13 neg_lo:[1,1,0]
	flat_store_b32 v[8:9], v12 offset:196
	flat_load_b32 v12, v[4:5] offset:24
	flat_load_b32 v13, v[6:7] offset:8
	;; [unrolled: 5-line block ×3, first 2 shown]
	s_waitcnt vmcnt(0) lgkmcnt(0)
	v_dot4_i32_iu8 v12, v12, v13, v15 neg_lo:[1,1,0]
	flat_store_b32 v[8:9], v12 offset:204
	flat_load_b32 v12, v[4:5] offset:28
	flat_load_b32 v13, v[6:7]
	s_waitcnt vmcnt(0) lgkmcnt(0)
	v_dot4_i32_iu8 v12, v12, v13, v16 neg_lo:[1,1,0]
	flat_store_b32 v[8:9], v12 offset:224
	flat_load_b32 v12, v[4:5] offset:28
	flat_load_b32 v13, v[6:7] offset:4
	s_waitcnt vmcnt(0) lgkmcnt(0)
	v_dot4_i32_iu8 v12, v12, v13, v17 neg_lo:[1,1,0]
	flat_store_b32 v[8:9], v12 offset:228
	flat_load_b32 v12, v[4:5] offset:28
	flat_load_b32 v13, v[6:7] offset:8
	s_waitcnt vmcnt(0) lgkmcnt(0)
	v_dot4_i32_iu8 v12, v12, v13, v18 neg_lo:[1,1,0]
	flat_store_b32 v[8:9], v12 offset:232
	flat_load_b32 v12, v[4:5] offset:28
	flat_load_b32 v13, v[6:7] offset:12
	s_waitcnt vmcnt(0) lgkmcnt(0)
	v_dot4_i32_iu8 v12, v12, v13, v19 neg_lo:[1,1,0]
	flat_store_b32 v[8:9], v12 offset:236
	flat_load_b32 v14, v[0:1] offset:48
	flat_load_b64 v[12:13], v[10:11]
	s_waitcnt vmcnt(1) lgkmcnt(1)
	v_ashrrev_i32_e32 v15, 31, v14
	s_waitcnt vmcnt(0) lgkmcnt(0)
	v_add_co_u32 v12, vcc_lo, v12, v14
	s_delay_alu instid0(VALU_DEP_2) | instskip(NEXT) | instid1(VALU_DEP_2)
	v_add_co_ci_u32_e32 v13, vcc_lo, v13, v15, vcc_lo
	v_add_co_u32 v12, vcc_lo, 0x1000, v12
	s_delay_alu instid0(VALU_DEP_2)
	v_add_co_ci_u32_e32 v13, vcc_lo, 0, v13, vcc_lo
	flat_load_b128 v[12:15], v[12:13]
	flat_load_b32 v20, v[6:7] offset:16
	s_waitcnt vmcnt(1) lgkmcnt(1)
	flat_store_b128 v[6:7], v[12:15]
	flat_load_b32 v21, v[4:5] offset:16
	s_clause 0x1
	flat_load_b128 v[12:15], v[8:9] offset:144
	flat_load_b128 v[16:19], v[8:9] offset:176
	s_waitcnt vmcnt(1) lgkmcnt(1)
	v_dot4_i32_iu8 v12, v21, v20, v12 neg_lo:[1,1,0]
	flat_store_b32 v[8:9], v12 offset:144
	flat_load_b32 v12, v[4:5] offset:16
	flat_load_b32 v20, v[6:7] offset:20
	s_waitcnt vmcnt(0) lgkmcnt(0)
	v_dot4_i32_iu8 v12, v12, v20, v13 neg_lo:[1,1,0]
	flat_store_b32 v[8:9], v12 offset:148
	flat_load_b32 v12, v[4:5] offset:16
	flat_load_b32 v13, v[6:7] offset:24
	;; [unrolled: 5-line block ×8, first 2 shown]
	s_clause 0x1
	flat_load_b128 v[12:15], v[8:9] offset:208
	flat_load_b128 v[16:19], v[8:9] offset:240
	s_waitcnt vmcnt(1) lgkmcnt(1)
	v_dot4_i32_iu8 v12, v20, v21, v12 neg_lo:[1,1,0]
	flat_store_b32 v[8:9], v12 offset:208
	flat_load_b32 v12, v[4:5] offset:24
	flat_load_b32 v20, v[6:7] offset:20
	s_waitcnt vmcnt(0) lgkmcnt(0)
	v_dot4_i32_iu8 v12, v12, v20, v13 neg_lo:[1,1,0]
	flat_store_b32 v[8:9], v12 offset:212
	flat_load_b32 v12, v[4:5] offset:24
	flat_load_b32 v13, v[6:7] offset:24
	;; [unrolled: 5-line block ×7, first 2 shown]
	s_waitcnt vmcnt(0) lgkmcnt(0)
	v_dot4_i32_iu8 v12, v12, v13, v19 neg_lo:[1,1,0]
	flat_store_b32 v[8:9], v12 offset:252
	flat_load_b32 v14, v[0:1] offset:48
	flat_load_b64 v[12:13], v[10:11]
	s_waitcnt vmcnt(1) lgkmcnt(1)
	v_ashrrev_i32_e32 v15, 31, v14
	s_waitcnt vmcnt(0) lgkmcnt(0)
	v_add_co_u32 v12, vcc_lo, v12, v14
	s_delay_alu instid0(VALU_DEP_2) | instskip(NEXT) | instid1(VALU_DEP_2)
	v_add_co_ci_u32_e32 v13, vcc_lo, v13, v15, vcc_lo
	v_add_co_u32 v12, vcc_lo, 0x1000, v12
	s_delay_alu instid0(VALU_DEP_2)
	v_add_co_ci_u32_e32 v13, vcc_lo, 0, v13, vcc_lo
	flat_load_b128 v[12:15], v[12:13] offset:256
	s_waitcnt vmcnt(0) lgkmcnt(0)
	flat_store_b128 v[6:7], v[12:15] offset:16
	flat_load_b32 v14, v[0:1] offset:16
	flat_load_b64 v[12:13], v[2:3]
	s_waitcnt vmcnt(1) lgkmcnt(1)
	v_ashrrev_i32_e32 v15, 31, v14
	s_waitcnt vmcnt(0) lgkmcnt(0)
	v_add_co_u32 v12, vcc_lo, v12, v14
	s_delay_alu instid0(VALU_DEP_2) | instskip(NEXT) | instid1(VALU_DEP_2)
	v_add_co_ci_u32_e32 v13, vcc_lo, v13, v15, vcc_lo
	v_add_co_u32 v12, vcc_lo, 0x1000, v12
	s_delay_alu instid0(VALU_DEP_2)
	v_add_co_ci_u32_e32 v13, vcc_lo, 0, v13, vcc_lo
	flat_load_b128 v[12:15], v[12:13] offset:256
	flat_load_b32 v20, v[4:5]
	s_waitcnt vmcnt(1) lgkmcnt(1)
	flat_store_b128 v[4:5], v[12:15] offset:16
	flat_load_b32 v21, v[6:7]
	s_clause 0x1
	flat_load_b128 v[12:15], v[8:9]
	flat_load_b128 v[16:19], v[8:9] offset:16
	s_waitcnt vmcnt(1) lgkmcnt(1)
	v_dot4_i32_iu8 v12, v20, v21, v12 neg_lo:[1,1,0]
	flat_store_b32 v[8:9], v12
	flat_load_b32 v12, v[4:5]
	flat_load_b32 v20, v[6:7] offset:4
	s_waitcnt vmcnt(0) lgkmcnt(0)
	v_dot4_i32_iu8 v12, v12, v20, v13 neg_lo:[1,1,0]
	flat_store_b32 v[8:9], v12 offset:4
	flat_load_b32 v12, v[4:5]
	flat_load_b32 v13, v[6:7] offset:8
	s_waitcnt vmcnt(0) lgkmcnt(0)
	v_dot4_i32_iu8 v12, v12, v13, v14 neg_lo:[1,1,0]
	flat_store_b32 v[8:9], v12 offset:8
	;; [unrolled: 5-line block ×3, first 2 shown]
	flat_load_b32 v24, v[4:5] offset:4
	flat_load_b32 v25, v[6:7]
	s_clause 0x1
	flat_load_b128 v[12:15], v[8:9] offset:32
	flat_load_b128 v[20:23], v[8:9] offset:48
	s_waitcnt vmcnt(1) lgkmcnt(1)
	v_dot4_i32_iu8 v12, v24, v25, v12 neg_lo:[1,1,0]
	flat_store_b32 v[8:9], v12 offset:32
	flat_load_b32 v12, v[4:5] offset:4
	flat_load_b32 v24, v[6:7] offset:4
	s_waitcnt vmcnt(0) lgkmcnt(0)
	v_dot4_i32_iu8 v12, v12, v24, v13 neg_lo:[1,1,0]
	flat_store_b32 v[8:9], v12 offset:36
	flat_load_b32 v12, v[4:5] offset:4
	flat_load_b32 v13, v[6:7] offset:8
	s_waitcnt vmcnt(0) lgkmcnt(0)
	v_dot4_i32_iu8 v12, v12, v13, v14 neg_lo:[1,1,0]
	flat_store_b32 v[8:9], v12 offset:40
	flat_load_b32 v12, v[4:5] offset:4
	flat_load_b32 v13, v[6:7] offset:12
	s_waitcnt vmcnt(0) lgkmcnt(0)
	v_dot4_i32_iu8 v12, v12, v13, v15 neg_lo:[1,1,0]
	flat_store_b32 v[8:9], v12 offset:44
	flat_load_b32 v28, v[4:5] offset:8
	flat_load_b32 v29, v[6:7]
	s_clause 0x1
	flat_load_b128 v[12:15], v[8:9] offset:64
	flat_load_b128 v[24:27], v[8:9] offset:80
	s_waitcnt vmcnt(1) lgkmcnt(1)
	v_dot4_i32_iu8 v12, v28, v29, v12 neg_lo:[1,1,0]
	flat_store_b32 v[8:9], v12 offset:64
	flat_load_b32 v12, v[4:5] offset:8
	flat_load_b32 v28, v[6:7] offset:4
	s_waitcnt vmcnt(0) lgkmcnt(0)
	v_dot4_i32_iu8 v12, v12, v28, v13 neg_lo:[1,1,0]
	flat_store_b32 v[8:9], v12 offset:68
	flat_load_b32 v12, v[4:5] offset:8
	flat_load_b32 v13, v[6:7] offset:8
	s_waitcnt vmcnt(0) lgkmcnt(0)
	v_dot4_i32_iu8 v12, v12, v13, v14 neg_lo:[1,1,0]
	flat_store_b32 v[8:9], v12 offset:72
	flat_load_b32 v12, v[4:5] offset:8
	flat_load_b32 v13, v[6:7] offset:12
	s_waitcnt vmcnt(0) lgkmcnt(0)
	v_dot4_i32_iu8 v12, v12, v13, v15 neg_lo:[1,1,0]
	flat_store_b32 v[8:9], v12 offset:76
	;; [unrolled: 23-line block ×3, first 2 shown]
	flat_load_b32 v12, v[4:5]
	flat_load_b32 v13, v[6:7] offset:16
	s_waitcnt vmcnt(0) lgkmcnt(0)
	v_dot4_i32_iu8 v12, v12, v13, v16 neg_lo:[1,1,0]
	flat_store_b32 v[8:9], v12 offset:16
	flat_load_b32 v12, v[4:5]
	flat_load_b32 v13, v[6:7] offset:20
	s_waitcnt vmcnt(0) lgkmcnt(0)
	v_dot4_i32_iu8 v12, v12, v13, v17 neg_lo:[1,1,0]
	flat_store_b32 v[8:9], v12 offset:20
	;; [unrolled: 5-line block ×4, first 2 shown]
	flat_load_b32 v12, v[4:5] offset:4
	flat_load_b32 v13, v[6:7] offset:16
	s_waitcnt vmcnt(0) lgkmcnt(0)
	v_dot4_i32_iu8 v12, v12, v13, v20 neg_lo:[1,1,0]
	flat_store_b32 v[8:9], v12 offset:48
	flat_load_b32 v12, v[4:5] offset:4
	flat_load_b32 v13, v[6:7] offset:20
	s_waitcnt vmcnt(0) lgkmcnt(0)
	v_dot4_i32_iu8 v12, v12, v13, v21 neg_lo:[1,1,0]
	flat_store_b32 v[8:9], v12 offset:52
	;; [unrolled: 5-line block ×12, first 2 shown]
	flat_load_b32 v14, v[0:1] offset:16
	flat_load_b64 v[12:13], v[2:3]
	s_waitcnt vmcnt(1) lgkmcnt(1)
	v_ashrrev_i32_e32 v15, 31, v14
	s_waitcnt vmcnt(0) lgkmcnt(0)
	v_add_co_u32 v12, vcc_lo, v12, v14
	s_delay_alu instid0(VALU_DEP_2) | instskip(NEXT) | instid1(VALU_DEP_2)
	v_add_co_ci_u32_e32 v13, vcc_lo, v13, v15, vcc_lo
	v_add_co_u32 v12, vcc_lo, 0x1000, v12
	s_delay_alu instid0(VALU_DEP_2)
	v_add_co_ci_u32_e32 v13, vcc_lo, 0, v13, vcc_lo
	flat_load_b128 v[12:15], v[12:13] offset:512
	flat_load_b32 v20, v[4:5] offset:16
	s_waitcnt vmcnt(1) lgkmcnt(1)
	flat_store_b128 v[4:5], v[12:15]
	flat_load_b32 v21, v[6:7]
	s_clause 0x1
	flat_load_b128 v[12:15], v[8:9] offset:128
	flat_load_b128 v[16:19], v[8:9] offset:160
	s_waitcnt vmcnt(1) lgkmcnt(1)
	v_dot4_i32_iu8 v12, v20, v21, v12 neg_lo:[1,1,0]
	flat_store_b32 v[8:9], v12 offset:128
	flat_load_b32 v12, v[4:5] offset:16
	flat_load_b32 v20, v[6:7] offset:4
	s_waitcnt vmcnt(0) lgkmcnt(0)
	v_dot4_i32_iu8 v12, v12, v20, v13 neg_lo:[1,1,0]
	flat_store_b32 v[8:9], v12 offset:132
	flat_load_b32 v12, v[4:5] offset:16
	flat_load_b32 v13, v[6:7] offset:8
	s_waitcnt vmcnt(0) lgkmcnt(0)
	v_dot4_i32_iu8 v12, v12, v13, v14 neg_lo:[1,1,0]
	flat_store_b32 v[8:9], v12 offset:136
	flat_load_b32 v12, v[4:5] offset:16
	flat_load_b32 v13, v[6:7] offset:12
	s_waitcnt vmcnt(0) lgkmcnt(0)
	v_dot4_i32_iu8 v12, v12, v13, v15 neg_lo:[1,1,0]
	flat_store_b32 v[8:9], v12 offset:140
	flat_load_b32 v12, v[4:5] offset:20
	flat_load_b32 v13, v[6:7]
	s_waitcnt vmcnt(0) lgkmcnt(0)
	v_dot4_i32_iu8 v12, v12, v13, v16 neg_lo:[1,1,0]
	flat_store_b32 v[8:9], v12 offset:160
	flat_load_b32 v12, v[4:5] offset:20
	flat_load_b32 v13, v[6:7] offset:4
	s_waitcnt vmcnt(0) lgkmcnt(0)
	v_dot4_i32_iu8 v12, v12, v13, v17 neg_lo:[1,1,0]
	flat_store_b32 v[8:9], v12 offset:164
	flat_load_b32 v12, v[4:5] offset:20
	flat_load_b32 v13, v[6:7] offset:8
	;; [unrolled: 5-line block ×3, first 2 shown]
	s_waitcnt vmcnt(0) lgkmcnt(0)
	v_dot4_i32_iu8 v12, v12, v13, v19 neg_lo:[1,1,0]
	flat_store_b32 v[8:9], v12 offset:172
	flat_load_b32 v20, v[4:5] offset:24
	flat_load_b32 v21, v[6:7]
	s_clause 0x1
	flat_load_b128 v[12:15], v[8:9] offset:192
	flat_load_b128 v[16:19], v[8:9] offset:224
	s_waitcnt vmcnt(1) lgkmcnt(1)
	v_dot4_i32_iu8 v12, v20, v21, v12 neg_lo:[1,1,0]
	flat_store_b32 v[8:9], v12 offset:192
	flat_load_b32 v12, v[4:5] offset:24
	flat_load_b32 v20, v[6:7] offset:4
	s_waitcnt vmcnt(0) lgkmcnt(0)
	v_dot4_i32_iu8 v12, v12, v20, v13 neg_lo:[1,1,0]
	flat_store_b32 v[8:9], v12 offset:196
	flat_load_b32 v12, v[4:5] offset:24
	flat_load_b32 v13, v[6:7] offset:8
	;; [unrolled: 5-line block ×3, first 2 shown]
	s_waitcnt vmcnt(0) lgkmcnt(0)
	v_dot4_i32_iu8 v12, v12, v13, v15 neg_lo:[1,1,0]
	flat_store_b32 v[8:9], v12 offset:204
	flat_load_b32 v12, v[4:5] offset:28
	flat_load_b32 v13, v[6:7]
	s_waitcnt vmcnt(0) lgkmcnt(0)
	v_dot4_i32_iu8 v12, v12, v13, v16 neg_lo:[1,1,0]
	flat_store_b32 v[8:9], v12 offset:224
	flat_load_b32 v12, v[4:5] offset:28
	flat_load_b32 v13, v[6:7] offset:4
	s_waitcnt vmcnt(0) lgkmcnt(0)
	v_dot4_i32_iu8 v12, v12, v13, v17 neg_lo:[1,1,0]
	flat_store_b32 v[8:9], v12 offset:228
	flat_load_b32 v12, v[4:5] offset:28
	flat_load_b32 v13, v[6:7] offset:8
	s_waitcnt vmcnt(0) lgkmcnt(0)
	v_dot4_i32_iu8 v12, v12, v13, v18 neg_lo:[1,1,0]
	flat_store_b32 v[8:9], v12 offset:232
	flat_load_b32 v12, v[4:5] offset:28
	flat_load_b32 v13, v[6:7] offset:12
	s_waitcnt vmcnt(0) lgkmcnt(0)
	v_dot4_i32_iu8 v12, v12, v13, v19 neg_lo:[1,1,0]
	flat_store_b32 v[8:9], v12 offset:236
	flat_load_b32 v14, v[0:1] offset:48
	flat_load_b64 v[12:13], v[10:11]
	s_waitcnt vmcnt(1) lgkmcnt(1)
	v_ashrrev_i32_e32 v15, 31, v14
	s_waitcnt vmcnt(0) lgkmcnt(0)
	v_add_co_u32 v12, vcc_lo, v12, v14
	s_delay_alu instid0(VALU_DEP_2) | instskip(NEXT) | instid1(VALU_DEP_2)
	v_add_co_ci_u32_e32 v13, vcc_lo, v13, v15, vcc_lo
	v_add_co_u32 v12, vcc_lo, 0x1000, v12
	s_delay_alu instid0(VALU_DEP_2)
	v_add_co_ci_u32_e32 v13, vcc_lo, 0, v13, vcc_lo
	flat_load_b128 v[12:15], v[12:13] offset:512
	flat_load_b32 v16, v[6:7] offset:16
	s_waitcnt vmcnt(1) lgkmcnt(1)
	flat_store_b128 v[6:7], v[12:15]
	flat_load_b32 v17, v[4:5] offset:16
	flat_load_b128 v[12:15], v[8:9] offset:144
	s_waitcnt vmcnt(0) lgkmcnt(0)
	v_dot4_i32_iu8 v12, v17, v16, v12 neg_lo:[1,1,0]
	flat_store_b32 v[8:9], v12 offset:144
	flat_load_b32 v12, v[4:5] offset:16
	flat_load_b32 v16, v[6:7] offset:20
	s_waitcnt vmcnt(0) lgkmcnt(0)
	v_dot4_i32_iu8 v12, v12, v16, v13 neg_lo:[1,1,0]
	flat_store_b32 v[8:9], v12 offset:148
	flat_load_b32 v12, v[4:5] offset:16
	flat_load_b32 v13, v[6:7] offset:24
	flat_load_b128 v[16:19], v[8:9] offset:176
	s_waitcnt vmcnt(1) lgkmcnt(1)
	v_dot4_i32_iu8 v12, v12, v13, v14 neg_lo:[1,1,0]
	flat_store_b32 v[8:9], v12 offset:152
	flat_load_b32 v12, v[4:5] offset:16
	flat_load_b32 v13, v[6:7] offset:28
	s_waitcnt vmcnt(0) lgkmcnt(0)
	v_dot4_i32_iu8 v12, v12, v13, v15 neg_lo:[1,1,0]
	flat_store_b32 v[8:9], v12 offset:156
	flat_load_b32 v12, v[4:5] offset:20
	flat_load_b32 v13, v[6:7] offset:16
	;; [unrolled: 5-line block ×6, first 2 shown]
	s_clause 0x1
	flat_load_b128 v[12:15], v[8:9] offset:208
	flat_load_b128 v[16:19], v[8:9] offset:240
	s_waitcnt vmcnt(1) lgkmcnt(1)
	v_dot4_i32_iu8 v12, v20, v21, v12 neg_lo:[1,1,0]
	flat_store_b32 v[8:9], v12 offset:208
	flat_load_b32 v12, v[4:5] offset:24
	flat_load_b32 v20, v[6:7] offset:20
	s_waitcnt vmcnt(0) lgkmcnt(0)
	v_dot4_i32_iu8 v12, v12, v20, v13 neg_lo:[1,1,0]
	flat_store_b32 v[8:9], v12 offset:212
	flat_load_b32 v12, v[4:5] offset:24
	flat_load_b32 v13, v[6:7] offset:24
	;; [unrolled: 5-line block ×7, first 2 shown]
	s_waitcnt vmcnt(0) lgkmcnt(0)
	v_dot4_i32_iu8 v12, v12, v13, v19 neg_lo:[1,1,0]
	flat_store_b32 v[8:9], v12 offset:252
	flat_load_b32 v14, v[0:1] offset:48
	flat_load_b64 v[12:13], v[10:11]
	s_waitcnt vmcnt(1) lgkmcnt(1)
	v_ashrrev_i32_e32 v15, 31, v14
	s_waitcnt vmcnt(0) lgkmcnt(0)
	v_add_co_u32 v12, vcc_lo, v12, v14
	s_delay_alu instid0(VALU_DEP_2) | instskip(NEXT) | instid1(VALU_DEP_2)
	v_add_co_ci_u32_e32 v13, vcc_lo, v13, v15, vcc_lo
	v_add_co_u32 v12, vcc_lo, 0x1000, v12
	s_delay_alu instid0(VALU_DEP_2)
	v_add_co_ci_u32_e32 v13, vcc_lo, 0, v13, vcc_lo
	flat_load_b128 v[12:15], v[12:13] offset:768
	s_waitcnt vmcnt(0) lgkmcnt(0)
	flat_store_b128 v[6:7], v[12:15] offset:16
	flat_load_b32 v14, v[0:1] offset:16
	flat_load_b64 v[12:13], v[2:3]
	s_waitcnt vmcnt(1) lgkmcnt(1)
	v_ashrrev_i32_e32 v15, 31, v14
	s_waitcnt vmcnt(0) lgkmcnt(0)
	v_add_co_u32 v12, vcc_lo, v12, v14
	s_delay_alu instid0(VALU_DEP_2) | instskip(NEXT) | instid1(VALU_DEP_2)
	v_add_co_ci_u32_e32 v13, vcc_lo, v13, v15, vcc_lo
	v_add_co_u32 v12, vcc_lo, 0x1000, v12
	s_delay_alu instid0(VALU_DEP_2)
	v_add_co_ci_u32_e32 v13, vcc_lo, 0, v13, vcc_lo
	flat_load_b128 v[12:15], v[12:13] offset:768
	flat_load_b32 v20, v[4:5]
	s_waitcnt vmcnt(1) lgkmcnt(1)
	flat_store_b128 v[4:5], v[12:15] offset:16
	flat_load_b32 v21, v[6:7]
	s_clause 0x1
	flat_load_b128 v[12:15], v[8:9]
	flat_load_b128 v[16:19], v[8:9] offset:16
	s_waitcnt vmcnt(1) lgkmcnt(1)
	v_dot4_i32_iu8 v12, v20, v21, v12 neg_lo:[1,1,0]
	flat_store_b32 v[8:9], v12
	flat_load_b32 v12, v[4:5]
	flat_load_b32 v20, v[6:7] offset:4
	s_waitcnt vmcnt(0) lgkmcnt(0)
	v_dot4_i32_iu8 v12, v12, v20, v13 neg_lo:[1,1,0]
	flat_store_b32 v[8:9], v12 offset:4
	flat_load_b32 v12, v[4:5]
	flat_load_b32 v13, v[6:7] offset:8
	s_waitcnt vmcnt(0) lgkmcnt(0)
	v_dot4_i32_iu8 v12, v12, v13, v14 neg_lo:[1,1,0]
	flat_store_b32 v[8:9], v12 offset:8
	;; [unrolled: 5-line block ×3, first 2 shown]
	flat_load_b32 v24, v[4:5] offset:4
	flat_load_b32 v25, v[6:7]
	s_clause 0x1
	flat_load_b128 v[12:15], v[8:9] offset:32
	flat_load_b128 v[20:23], v[8:9] offset:48
	s_waitcnt vmcnt(1) lgkmcnt(1)
	v_dot4_i32_iu8 v12, v24, v25, v12 neg_lo:[1,1,0]
	flat_store_b32 v[8:9], v12 offset:32
	flat_load_b32 v12, v[4:5] offset:4
	flat_load_b32 v24, v[6:7] offset:4
	s_waitcnt vmcnt(0) lgkmcnt(0)
	v_dot4_i32_iu8 v12, v12, v24, v13 neg_lo:[1,1,0]
	flat_store_b32 v[8:9], v12 offset:36
	flat_load_b32 v12, v[4:5] offset:4
	flat_load_b32 v13, v[6:7] offset:8
	s_waitcnt vmcnt(0) lgkmcnt(0)
	v_dot4_i32_iu8 v12, v12, v13, v14 neg_lo:[1,1,0]
	flat_store_b32 v[8:9], v12 offset:40
	flat_load_b32 v12, v[4:5] offset:4
	flat_load_b32 v13, v[6:7] offset:12
	s_waitcnt vmcnt(0) lgkmcnt(0)
	v_dot4_i32_iu8 v12, v12, v13, v15 neg_lo:[1,1,0]
	flat_store_b32 v[8:9], v12 offset:44
	flat_load_b32 v28, v[4:5] offset:8
	flat_load_b32 v29, v[6:7]
	s_clause 0x1
	flat_load_b128 v[12:15], v[8:9] offset:64
	flat_load_b128 v[24:27], v[8:9] offset:80
	s_waitcnt vmcnt(1) lgkmcnt(1)
	v_dot4_i32_iu8 v12, v28, v29, v12 neg_lo:[1,1,0]
	flat_store_b32 v[8:9], v12 offset:64
	flat_load_b32 v12, v[4:5] offset:8
	flat_load_b32 v28, v[6:7] offset:4
	s_waitcnt vmcnt(0) lgkmcnt(0)
	v_dot4_i32_iu8 v12, v12, v28, v13 neg_lo:[1,1,0]
	flat_store_b32 v[8:9], v12 offset:68
	flat_load_b32 v12, v[4:5] offset:8
	flat_load_b32 v13, v[6:7] offset:8
	s_waitcnt vmcnt(0) lgkmcnt(0)
	v_dot4_i32_iu8 v12, v12, v13, v14 neg_lo:[1,1,0]
	flat_store_b32 v[8:9], v12 offset:72
	flat_load_b32 v12, v[4:5] offset:8
	flat_load_b32 v13, v[6:7] offset:12
	s_waitcnt vmcnt(0) lgkmcnt(0)
	v_dot4_i32_iu8 v12, v12, v13, v15 neg_lo:[1,1,0]
	flat_store_b32 v[8:9], v12 offset:76
	;; [unrolled: 23-line block ×3, first 2 shown]
	flat_load_b32 v12, v[4:5]
	flat_load_b32 v13, v[6:7] offset:16
	s_waitcnt vmcnt(0) lgkmcnt(0)
	v_dot4_i32_iu8 v12, v12, v13, v16 neg_lo:[1,1,0]
	flat_store_b32 v[8:9], v12 offset:16
	flat_load_b32 v12, v[4:5]
	flat_load_b32 v13, v[6:7] offset:20
	s_waitcnt vmcnt(0) lgkmcnt(0)
	v_dot4_i32_iu8 v12, v12, v13, v17 neg_lo:[1,1,0]
	flat_store_b32 v[8:9], v12 offset:20
	;; [unrolled: 5-line block ×4, first 2 shown]
	flat_load_b32 v12, v[4:5] offset:4
	flat_load_b32 v13, v[6:7] offset:16
	s_waitcnt vmcnt(0) lgkmcnt(0)
	v_dot4_i32_iu8 v12, v12, v13, v20 neg_lo:[1,1,0]
	flat_store_b32 v[8:9], v12 offset:48
	flat_load_b32 v12, v[4:5] offset:4
	flat_load_b32 v13, v[6:7] offset:20
	s_waitcnt vmcnt(0) lgkmcnt(0)
	v_dot4_i32_iu8 v12, v12, v13, v21 neg_lo:[1,1,0]
	flat_store_b32 v[8:9], v12 offset:52
	;; [unrolled: 5-line block ×12, first 2 shown]
	flat_load_b32 v14, v[0:1] offset:16
	flat_load_b64 v[12:13], v[2:3]
	s_waitcnt vmcnt(1) lgkmcnt(1)
	v_ashrrev_i32_e32 v15, 31, v14
	s_waitcnt vmcnt(0) lgkmcnt(0)
	v_add_co_u32 v12, vcc_lo, v12, v14
	s_delay_alu instid0(VALU_DEP_2) | instskip(NEXT) | instid1(VALU_DEP_2)
	v_add_co_ci_u32_e32 v13, vcc_lo, v13, v15, vcc_lo
	v_add_co_u32 v12, vcc_lo, 0x1000, v12
	s_delay_alu instid0(VALU_DEP_2)
	v_add_co_ci_u32_e32 v13, vcc_lo, 0, v13, vcc_lo
	flat_load_b128 v[12:15], v[12:13] offset:1024
	flat_load_b32 v20, v[4:5] offset:16
	s_waitcnt vmcnt(1) lgkmcnt(1)
	flat_store_b128 v[4:5], v[12:15]
	flat_load_b32 v21, v[6:7]
	s_clause 0x1
	flat_load_b128 v[12:15], v[8:9] offset:128
	flat_load_b128 v[16:19], v[8:9] offset:160
	s_waitcnt vmcnt(1) lgkmcnt(1)
	v_dot4_i32_iu8 v12, v20, v21, v12 neg_lo:[1,1,0]
	flat_store_b32 v[8:9], v12 offset:128
	flat_load_b32 v12, v[4:5] offset:16
	flat_load_b32 v20, v[6:7] offset:4
	s_waitcnt vmcnt(0) lgkmcnt(0)
	v_dot4_i32_iu8 v12, v12, v20, v13 neg_lo:[1,1,0]
	flat_store_b32 v[8:9], v12 offset:132
	flat_load_b32 v12, v[4:5] offset:16
	flat_load_b32 v13, v[6:7] offset:8
	;; [unrolled: 5-line block ×3, first 2 shown]
	s_waitcnt vmcnt(0) lgkmcnt(0)
	v_dot4_i32_iu8 v12, v12, v13, v15 neg_lo:[1,1,0]
	flat_store_b32 v[8:9], v12 offset:140
	flat_load_b32 v12, v[4:5] offset:20
	flat_load_b32 v13, v[6:7]
	s_waitcnt vmcnt(0) lgkmcnt(0)
	v_dot4_i32_iu8 v12, v12, v13, v16 neg_lo:[1,1,0]
	flat_store_b32 v[8:9], v12 offset:160
	flat_load_b32 v12, v[4:5] offset:20
	flat_load_b32 v13, v[6:7] offset:4
	s_waitcnt vmcnt(0) lgkmcnt(0)
	v_dot4_i32_iu8 v12, v12, v13, v17 neg_lo:[1,1,0]
	flat_store_b32 v[8:9], v12 offset:164
	flat_load_b32 v12, v[4:5] offset:20
	flat_load_b32 v13, v[6:7] offset:8
	;; [unrolled: 5-line block ×3, first 2 shown]
	s_waitcnt vmcnt(0) lgkmcnt(0)
	v_dot4_i32_iu8 v12, v12, v13, v19 neg_lo:[1,1,0]
	flat_store_b32 v[8:9], v12 offset:172
	flat_load_b32 v20, v[4:5] offset:24
	flat_load_b32 v21, v[6:7]
	s_clause 0x1
	flat_load_b128 v[12:15], v[8:9] offset:192
	flat_load_b128 v[16:19], v[8:9] offset:224
	s_waitcnt vmcnt(1) lgkmcnt(1)
	v_dot4_i32_iu8 v12, v20, v21, v12 neg_lo:[1,1,0]
	flat_store_b32 v[8:9], v12 offset:192
	flat_load_b32 v12, v[4:5] offset:24
	flat_load_b32 v20, v[6:7] offset:4
	s_waitcnt vmcnt(0) lgkmcnt(0)
	v_dot4_i32_iu8 v12, v12, v20, v13 neg_lo:[1,1,0]
	flat_store_b32 v[8:9], v12 offset:196
	flat_load_b32 v12, v[4:5] offset:24
	flat_load_b32 v13, v[6:7] offset:8
	;; [unrolled: 5-line block ×3, first 2 shown]
	s_waitcnt vmcnt(0) lgkmcnt(0)
	v_dot4_i32_iu8 v12, v12, v13, v15 neg_lo:[1,1,0]
	flat_store_b32 v[8:9], v12 offset:204
	flat_load_b32 v12, v[4:5] offset:28
	flat_load_b32 v13, v[6:7]
	s_waitcnt vmcnt(0) lgkmcnt(0)
	v_dot4_i32_iu8 v12, v12, v13, v16 neg_lo:[1,1,0]
	flat_store_b32 v[8:9], v12 offset:224
	flat_load_b32 v12, v[4:5] offset:28
	flat_load_b32 v13, v[6:7] offset:4
	s_waitcnt vmcnt(0) lgkmcnt(0)
	v_dot4_i32_iu8 v12, v12, v13, v17 neg_lo:[1,1,0]
	flat_store_b32 v[8:9], v12 offset:228
	flat_load_b32 v12, v[4:5] offset:28
	flat_load_b32 v13, v[6:7] offset:8
	;; [unrolled: 5-line block ×3, first 2 shown]
	s_waitcnt vmcnt(0) lgkmcnt(0)
	v_dot4_i32_iu8 v12, v12, v13, v19 neg_lo:[1,1,0]
	flat_store_b32 v[8:9], v12 offset:236
	flat_load_b32 v14, v[0:1] offset:48
	flat_load_b64 v[12:13], v[10:11]
	s_waitcnt vmcnt(1) lgkmcnt(1)
	v_ashrrev_i32_e32 v15, 31, v14
	s_waitcnt vmcnt(0) lgkmcnt(0)
	v_add_co_u32 v12, vcc_lo, v12, v14
	s_delay_alu instid0(VALU_DEP_2) | instskip(NEXT) | instid1(VALU_DEP_2)
	v_add_co_ci_u32_e32 v13, vcc_lo, v13, v15, vcc_lo
	v_add_co_u32 v12, vcc_lo, 0x1000, v12
	s_delay_alu instid0(VALU_DEP_2)
	v_add_co_ci_u32_e32 v13, vcc_lo, 0, v13, vcc_lo
	flat_load_b128 v[12:15], v[12:13] offset:1024
	flat_load_b32 v20, v[6:7] offset:16
	s_waitcnt vmcnt(1) lgkmcnt(1)
	flat_store_b128 v[6:7], v[12:15]
	flat_load_b32 v21, v[4:5] offset:16
	s_clause 0x1
	flat_load_b128 v[12:15], v[8:9] offset:144
	flat_load_b128 v[16:19], v[8:9] offset:176
	s_waitcnt vmcnt(1) lgkmcnt(1)
	v_dot4_i32_iu8 v12, v21, v20, v12 neg_lo:[1,1,0]
	flat_store_b32 v[8:9], v12 offset:144
	flat_load_b32 v12, v[4:5] offset:16
	flat_load_b32 v20, v[6:7] offset:20
	s_waitcnt vmcnt(0) lgkmcnt(0)
	v_dot4_i32_iu8 v12, v12, v20, v13 neg_lo:[1,1,0]
	flat_store_b32 v[8:9], v12 offset:148
	flat_load_b32 v12, v[4:5] offset:16
	flat_load_b32 v13, v[6:7] offset:24
	;; [unrolled: 5-line block ×8, first 2 shown]
	s_clause 0x1
	flat_load_b128 v[12:15], v[8:9] offset:208
	flat_load_b128 v[16:19], v[8:9] offset:240
	s_waitcnt vmcnt(1) lgkmcnt(1)
	v_dot4_i32_iu8 v12, v20, v21, v12 neg_lo:[1,1,0]
	flat_store_b32 v[8:9], v12 offset:208
	flat_load_b32 v12, v[4:5] offset:24
	flat_load_b32 v20, v[6:7] offset:20
	s_waitcnt vmcnt(0) lgkmcnt(0)
	v_dot4_i32_iu8 v12, v12, v20, v13 neg_lo:[1,1,0]
	flat_store_b32 v[8:9], v12 offset:212
	flat_load_b32 v12, v[4:5] offset:24
	flat_load_b32 v13, v[6:7] offset:24
	;; [unrolled: 5-line block ×7, first 2 shown]
	s_waitcnt vmcnt(0) lgkmcnt(0)
	v_dot4_i32_iu8 v12, v12, v13, v19 neg_lo:[1,1,0]
	flat_store_b32 v[8:9], v12 offset:252
	flat_load_b32 v14, v[0:1] offset:48
	flat_load_b64 v[12:13], v[10:11]
	s_waitcnt vmcnt(1) lgkmcnt(1)
	v_ashrrev_i32_e32 v15, 31, v14
	s_waitcnt vmcnt(0) lgkmcnt(0)
	v_add_co_u32 v12, vcc_lo, v12, v14
	s_delay_alu instid0(VALU_DEP_2) | instskip(NEXT) | instid1(VALU_DEP_2)
	v_add_co_ci_u32_e32 v13, vcc_lo, v13, v15, vcc_lo
	v_add_co_u32 v12, vcc_lo, 0x1000, v12
	s_delay_alu instid0(VALU_DEP_2)
	v_add_co_ci_u32_e32 v13, vcc_lo, 0, v13, vcc_lo
	flat_load_b128 v[12:15], v[12:13] offset:1280
	s_waitcnt vmcnt(0) lgkmcnt(0)
	flat_store_b128 v[6:7], v[12:15] offset:16
	flat_load_b32 v14, v[0:1] offset:16
	flat_load_b64 v[12:13], v[2:3]
	s_waitcnt vmcnt(1) lgkmcnt(1)
	v_ashrrev_i32_e32 v15, 31, v14
	s_waitcnt vmcnt(0) lgkmcnt(0)
	v_add_co_u32 v12, vcc_lo, v12, v14
	s_delay_alu instid0(VALU_DEP_2) | instskip(NEXT) | instid1(VALU_DEP_2)
	v_add_co_ci_u32_e32 v13, vcc_lo, v13, v15, vcc_lo
	v_add_co_u32 v12, vcc_lo, 0x1000, v12
	s_delay_alu instid0(VALU_DEP_2)
	v_add_co_ci_u32_e32 v13, vcc_lo, 0, v13, vcc_lo
	flat_load_b128 v[12:15], v[12:13] offset:1280
	flat_load_b32 v20, v[4:5]
	s_waitcnt vmcnt(1) lgkmcnt(1)
	flat_store_b128 v[4:5], v[12:15] offset:16
	flat_load_b32 v21, v[6:7]
	s_clause 0x1
	flat_load_b128 v[12:15], v[8:9]
	flat_load_b128 v[16:19], v[8:9] offset:16
	s_waitcnt vmcnt(1) lgkmcnt(1)
	v_dot4_i32_iu8 v12, v20, v21, v12 neg_lo:[1,1,0]
	flat_store_b32 v[8:9], v12
	flat_load_b32 v12, v[4:5]
	flat_load_b32 v20, v[6:7] offset:4
	s_waitcnt vmcnt(0) lgkmcnt(0)
	v_dot4_i32_iu8 v12, v12, v20, v13 neg_lo:[1,1,0]
	flat_store_b32 v[8:9], v12 offset:4
	flat_load_b32 v12, v[4:5]
	flat_load_b32 v13, v[6:7] offset:8
	s_waitcnt vmcnt(0) lgkmcnt(0)
	v_dot4_i32_iu8 v12, v12, v13, v14 neg_lo:[1,1,0]
	flat_store_b32 v[8:9], v12 offset:8
	;; [unrolled: 5-line block ×3, first 2 shown]
	flat_load_b32 v24, v[4:5] offset:4
	flat_load_b32 v25, v[6:7]
	s_clause 0x1
	flat_load_b128 v[12:15], v[8:9] offset:32
	flat_load_b128 v[20:23], v[8:9] offset:48
	s_waitcnt vmcnt(1) lgkmcnt(1)
	v_dot4_i32_iu8 v12, v24, v25, v12 neg_lo:[1,1,0]
	flat_store_b32 v[8:9], v12 offset:32
	flat_load_b32 v12, v[4:5] offset:4
	flat_load_b32 v24, v[6:7] offset:4
	s_waitcnt vmcnt(0) lgkmcnt(0)
	v_dot4_i32_iu8 v12, v12, v24, v13 neg_lo:[1,1,0]
	flat_store_b32 v[8:9], v12 offset:36
	flat_load_b32 v12, v[4:5] offset:4
	flat_load_b32 v13, v[6:7] offset:8
	s_waitcnt vmcnt(0) lgkmcnt(0)
	v_dot4_i32_iu8 v12, v12, v13, v14 neg_lo:[1,1,0]
	flat_store_b32 v[8:9], v12 offset:40
	flat_load_b32 v12, v[4:5] offset:4
	flat_load_b32 v13, v[6:7] offset:12
	s_waitcnt vmcnt(0) lgkmcnt(0)
	v_dot4_i32_iu8 v12, v12, v13, v15 neg_lo:[1,1,0]
	flat_store_b32 v[8:9], v12 offset:44
	flat_load_b32 v28, v[4:5] offset:8
	flat_load_b32 v29, v[6:7]
	s_clause 0x1
	flat_load_b128 v[12:15], v[8:9] offset:64
	flat_load_b128 v[24:27], v[8:9] offset:80
	s_waitcnt vmcnt(1) lgkmcnt(1)
	v_dot4_i32_iu8 v12, v28, v29, v12 neg_lo:[1,1,0]
	flat_store_b32 v[8:9], v12 offset:64
	flat_load_b32 v12, v[4:5] offset:8
	flat_load_b32 v28, v[6:7] offset:4
	s_waitcnt vmcnt(0) lgkmcnt(0)
	v_dot4_i32_iu8 v12, v12, v28, v13 neg_lo:[1,1,0]
	flat_store_b32 v[8:9], v12 offset:68
	flat_load_b32 v12, v[4:5] offset:8
	flat_load_b32 v13, v[6:7] offset:8
	s_waitcnt vmcnt(0) lgkmcnt(0)
	v_dot4_i32_iu8 v12, v12, v13, v14 neg_lo:[1,1,0]
	flat_store_b32 v[8:9], v12 offset:72
	flat_load_b32 v12, v[4:5] offset:8
	flat_load_b32 v13, v[6:7] offset:12
	s_waitcnt vmcnt(0) lgkmcnt(0)
	v_dot4_i32_iu8 v12, v12, v13, v15 neg_lo:[1,1,0]
	flat_store_b32 v[8:9], v12 offset:76
	;; [unrolled: 23-line block ×3, first 2 shown]
	flat_load_b32 v12, v[4:5]
	flat_load_b32 v13, v[6:7] offset:16
	s_waitcnt vmcnt(0) lgkmcnt(0)
	v_dot4_i32_iu8 v12, v12, v13, v16 neg_lo:[1,1,0]
	flat_store_b32 v[8:9], v12 offset:16
	flat_load_b32 v12, v[4:5]
	flat_load_b32 v13, v[6:7] offset:20
	s_waitcnt vmcnt(0) lgkmcnt(0)
	v_dot4_i32_iu8 v12, v12, v13, v17 neg_lo:[1,1,0]
	flat_store_b32 v[8:9], v12 offset:20
	flat_load_b32 v12, v[4:5]
	flat_load_b32 v13, v[6:7] offset:24
	s_waitcnt vmcnt(0) lgkmcnt(0)
	v_dot4_i32_iu8 v12, v12, v13, v18 neg_lo:[1,1,0]
	flat_store_b32 v[8:9], v12 offset:24
	flat_load_b32 v12, v[4:5]
	flat_load_b32 v13, v[6:7] offset:28
	s_waitcnt vmcnt(0) lgkmcnt(0)
	v_dot4_i32_iu8 v12, v12, v13, v19 neg_lo:[1,1,0]
	flat_store_b32 v[8:9], v12 offset:28
	flat_load_b32 v12, v[4:5] offset:4
	flat_load_b32 v13, v[6:7] offset:16
	s_waitcnt vmcnt(0) lgkmcnt(0)
	v_dot4_i32_iu8 v12, v12, v13, v20 neg_lo:[1,1,0]
	flat_store_b32 v[8:9], v12 offset:48
	flat_load_b32 v12, v[4:5] offset:4
	flat_load_b32 v13, v[6:7] offset:20
	s_waitcnt vmcnt(0) lgkmcnt(0)
	v_dot4_i32_iu8 v12, v12, v13, v21 neg_lo:[1,1,0]
	flat_store_b32 v[8:9], v12 offset:52
	;; [unrolled: 5-line block ×12, first 2 shown]
	flat_load_b32 v14, v[0:1] offset:16
	flat_load_b64 v[12:13], v[2:3]
	s_waitcnt vmcnt(1) lgkmcnt(1)
	v_ashrrev_i32_e32 v15, 31, v14
	s_waitcnt vmcnt(0) lgkmcnt(0)
	v_add_co_u32 v12, vcc_lo, v12, v14
	s_delay_alu instid0(VALU_DEP_2) | instskip(NEXT) | instid1(VALU_DEP_2)
	v_add_co_ci_u32_e32 v13, vcc_lo, v13, v15, vcc_lo
	v_add_co_u32 v12, vcc_lo, 0x1000, v12
	s_delay_alu instid0(VALU_DEP_2)
	v_add_co_ci_u32_e32 v13, vcc_lo, 0, v13, vcc_lo
	flat_load_b128 v[12:15], v[12:13] offset:1536
	flat_load_b32 v20, v[4:5] offset:16
	s_waitcnt vmcnt(1) lgkmcnt(1)
	flat_store_b128 v[4:5], v[12:15]
	flat_load_b32 v21, v[6:7]
	s_clause 0x1
	flat_load_b128 v[12:15], v[8:9] offset:128
	flat_load_b128 v[16:19], v[8:9] offset:160
	s_waitcnt vmcnt(1) lgkmcnt(1)
	v_dot4_i32_iu8 v12, v20, v21, v12 neg_lo:[1,1,0]
	flat_store_b32 v[8:9], v12 offset:128
	flat_load_b32 v12, v[4:5] offset:16
	flat_load_b32 v20, v[6:7] offset:4
	s_waitcnt vmcnt(0) lgkmcnt(0)
	v_dot4_i32_iu8 v12, v12, v20, v13 neg_lo:[1,1,0]
	flat_store_b32 v[8:9], v12 offset:132
	flat_load_b32 v12, v[4:5] offset:16
	flat_load_b32 v13, v[6:7] offset:8
	;; [unrolled: 5-line block ×3, first 2 shown]
	s_waitcnt vmcnt(0) lgkmcnt(0)
	v_dot4_i32_iu8 v12, v12, v13, v15 neg_lo:[1,1,0]
	flat_store_b32 v[8:9], v12 offset:140
	flat_load_b32 v12, v[4:5] offset:20
	flat_load_b32 v13, v[6:7]
	s_waitcnt vmcnt(0) lgkmcnt(0)
	v_dot4_i32_iu8 v12, v12, v13, v16 neg_lo:[1,1,0]
	flat_store_b32 v[8:9], v12 offset:160
	flat_load_b32 v12, v[4:5] offset:20
	flat_load_b32 v13, v[6:7] offset:4
	s_waitcnt vmcnt(0) lgkmcnt(0)
	v_dot4_i32_iu8 v12, v12, v13, v17 neg_lo:[1,1,0]
	flat_store_b32 v[8:9], v12 offset:164
	flat_load_b32 v12, v[4:5] offset:20
	flat_load_b32 v13, v[6:7] offset:8
	s_waitcnt vmcnt(0) lgkmcnt(0)
	v_dot4_i32_iu8 v12, v12, v13, v18 neg_lo:[1,1,0]
	flat_store_b32 v[8:9], v12 offset:168
	flat_load_b32 v12, v[4:5] offset:20
	flat_load_b32 v13, v[6:7] offset:12
	s_waitcnt vmcnt(0) lgkmcnt(0)
	v_dot4_i32_iu8 v12, v12, v13, v19 neg_lo:[1,1,0]
	flat_store_b32 v[8:9], v12 offset:172
	flat_load_b32 v20, v[4:5] offset:24
	flat_load_b32 v21, v[6:7]
	s_clause 0x1
	flat_load_b128 v[12:15], v[8:9] offset:192
	flat_load_b128 v[16:19], v[8:9] offset:224
	s_waitcnt vmcnt(1) lgkmcnt(1)
	v_dot4_i32_iu8 v12, v20, v21, v12 neg_lo:[1,1,0]
	flat_store_b32 v[8:9], v12 offset:192
	flat_load_b32 v12, v[4:5] offset:24
	flat_load_b32 v20, v[6:7] offset:4
	s_waitcnt vmcnt(0) lgkmcnt(0)
	v_dot4_i32_iu8 v12, v12, v20, v13 neg_lo:[1,1,0]
	flat_store_b32 v[8:9], v12 offset:196
	flat_load_b32 v12, v[4:5] offset:24
	flat_load_b32 v13, v[6:7] offset:8
	s_waitcnt vmcnt(0) lgkmcnt(0)
	v_dot4_i32_iu8 v12, v12, v13, v14 neg_lo:[1,1,0]
	flat_store_b32 v[8:9], v12 offset:200
	flat_load_b32 v12, v[4:5] offset:24
	flat_load_b32 v13, v[6:7] offset:12
	s_waitcnt vmcnt(0) lgkmcnt(0)
	v_dot4_i32_iu8 v12, v12, v13, v15 neg_lo:[1,1,0]
	flat_store_b32 v[8:9], v12 offset:204
	flat_load_b32 v12, v[4:5] offset:28
	flat_load_b32 v13, v[6:7]
	s_waitcnt vmcnt(0) lgkmcnt(0)
	v_dot4_i32_iu8 v12, v12, v13, v16 neg_lo:[1,1,0]
	flat_store_b32 v[8:9], v12 offset:224
	flat_load_b32 v12, v[4:5] offset:28
	flat_load_b32 v13, v[6:7] offset:4
	s_waitcnt vmcnt(0) lgkmcnt(0)
	v_dot4_i32_iu8 v12, v12, v13, v17 neg_lo:[1,1,0]
	flat_store_b32 v[8:9], v12 offset:228
	flat_load_b32 v12, v[4:5] offset:28
	flat_load_b32 v13, v[6:7] offset:8
	;; [unrolled: 5-line block ×3, first 2 shown]
	s_waitcnt vmcnt(0) lgkmcnt(0)
	v_dot4_i32_iu8 v12, v12, v13, v19 neg_lo:[1,1,0]
	flat_store_b32 v[8:9], v12 offset:236
	flat_load_b32 v14, v[0:1] offset:48
	flat_load_b64 v[12:13], v[10:11]
	s_waitcnt vmcnt(1) lgkmcnt(1)
	v_ashrrev_i32_e32 v15, 31, v14
	s_waitcnt vmcnt(0) lgkmcnt(0)
	v_add_co_u32 v12, vcc_lo, v12, v14
	s_delay_alu instid0(VALU_DEP_2) | instskip(NEXT) | instid1(VALU_DEP_2)
	v_add_co_ci_u32_e32 v13, vcc_lo, v13, v15, vcc_lo
	v_add_co_u32 v12, vcc_lo, 0x1000, v12
	s_delay_alu instid0(VALU_DEP_2)
	v_add_co_ci_u32_e32 v13, vcc_lo, 0, v13, vcc_lo
	flat_load_b128 v[12:15], v[12:13] offset:1536
	flat_load_b32 v20, v[6:7] offset:16
	s_waitcnt vmcnt(1) lgkmcnt(1)
	flat_store_b128 v[6:7], v[12:15]
	flat_load_b32 v21, v[4:5] offset:16
	s_clause 0x1
	flat_load_b128 v[12:15], v[8:9] offset:144
	flat_load_b128 v[16:19], v[8:9] offset:176
	s_waitcnt vmcnt(1) lgkmcnt(1)
	v_dot4_i32_iu8 v12, v21, v20, v12 neg_lo:[1,1,0]
	flat_store_b32 v[8:9], v12 offset:144
	flat_load_b32 v12, v[4:5] offset:16
	flat_load_b32 v20, v[6:7] offset:20
	s_waitcnt vmcnt(0) lgkmcnt(0)
	v_dot4_i32_iu8 v12, v12, v20, v13 neg_lo:[1,1,0]
	flat_store_b32 v[8:9], v12 offset:148
	flat_load_b32 v12, v[4:5] offset:16
	flat_load_b32 v13, v[6:7] offset:24
	;; [unrolled: 5-line block ×8, first 2 shown]
	s_clause 0x1
	flat_load_b128 v[12:15], v[8:9] offset:208
	flat_load_b128 v[16:19], v[8:9] offset:240
	s_waitcnt vmcnt(1) lgkmcnt(1)
	v_dot4_i32_iu8 v12, v20, v21, v12 neg_lo:[1,1,0]
	flat_store_b32 v[8:9], v12 offset:208
	flat_load_b32 v12, v[4:5] offset:24
	flat_load_b32 v20, v[6:7] offset:20
	s_waitcnt vmcnt(0) lgkmcnt(0)
	v_dot4_i32_iu8 v12, v12, v20, v13 neg_lo:[1,1,0]
	flat_store_b32 v[8:9], v12 offset:212
	flat_load_b32 v12, v[4:5] offset:24
	flat_load_b32 v13, v[6:7] offset:24
	s_waitcnt vmcnt(0) lgkmcnt(0)
	v_dot4_i32_iu8 v12, v12, v13, v14 neg_lo:[1,1,0]
	flat_store_b32 v[8:9], v12 offset:216
	flat_load_b32 v12, v[4:5] offset:24
	flat_load_b32 v13, v[6:7] offset:28
	s_waitcnt vmcnt(0) lgkmcnt(0)
	v_dot4_i32_iu8 v12, v12, v13, v15 neg_lo:[1,1,0]
	flat_store_b32 v[8:9], v12 offset:220
	flat_load_b32 v12, v[4:5] offset:28
	flat_load_b32 v13, v[6:7] offset:16
	s_waitcnt vmcnt(0) lgkmcnt(0)
	v_dot4_i32_iu8 v12, v12, v13, v16 neg_lo:[1,1,0]
	flat_store_b32 v[8:9], v12 offset:240
	flat_load_b32 v12, v[4:5] offset:28
	flat_load_b32 v13, v[6:7] offset:20
	s_waitcnt vmcnt(0) lgkmcnt(0)
	v_dot4_i32_iu8 v12, v12, v13, v17 neg_lo:[1,1,0]
	flat_store_b32 v[8:9], v12 offset:244
	flat_load_b32 v12, v[4:5] offset:28
	flat_load_b32 v13, v[6:7] offset:24
	s_waitcnt vmcnt(0) lgkmcnt(0)
	v_dot4_i32_iu8 v12, v12, v13, v18 neg_lo:[1,1,0]
	flat_store_b32 v[8:9], v12 offset:248
	flat_load_b32 v12, v[4:5] offset:28
	flat_load_b32 v13, v[6:7] offset:28
	s_waitcnt vmcnt(0) lgkmcnt(0)
	v_dot4_i32_iu8 v12, v12, v13, v19 neg_lo:[1,1,0]
	flat_store_b32 v[8:9], v12 offset:252
	flat_load_b32 v14, v[0:1] offset:48
	flat_load_b64 v[12:13], v[10:11]
	s_waitcnt vmcnt(1) lgkmcnt(1)
	v_ashrrev_i32_e32 v15, 31, v14
	s_waitcnt vmcnt(0) lgkmcnt(0)
	v_add_co_u32 v12, vcc_lo, v12, v14
	s_delay_alu instid0(VALU_DEP_2) | instskip(NEXT) | instid1(VALU_DEP_2)
	v_add_co_ci_u32_e32 v13, vcc_lo, v13, v15, vcc_lo
	v_add_co_u32 v12, vcc_lo, 0x1000, v12
	s_delay_alu instid0(VALU_DEP_2)
	v_add_co_ci_u32_e32 v13, vcc_lo, 0, v13, vcc_lo
	flat_load_b128 v[12:15], v[12:13] offset:1792
	s_waitcnt vmcnt(0) lgkmcnt(0)
	flat_store_b128 v[6:7], v[12:15] offset:16
	flat_load_b32 v14, v[0:1] offset:16
	flat_load_b64 v[12:13], v[2:3]
	s_waitcnt vmcnt(1) lgkmcnt(1)
	v_ashrrev_i32_e32 v15, 31, v14
	s_waitcnt vmcnt(0) lgkmcnt(0)
	v_add_co_u32 v12, vcc_lo, v12, v14
	s_delay_alu instid0(VALU_DEP_2) | instskip(NEXT) | instid1(VALU_DEP_2)
	v_add_co_ci_u32_e32 v13, vcc_lo, v13, v15, vcc_lo
	v_add_co_u32 v12, vcc_lo, 0x1000, v12
	s_delay_alu instid0(VALU_DEP_2)
	v_add_co_ci_u32_e32 v13, vcc_lo, 0, v13, vcc_lo
	flat_load_b128 v[12:15], v[12:13] offset:1792
	flat_load_b32 v20, v[4:5]
	s_waitcnt vmcnt(1) lgkmcnt(1)
	flat_store_b128 v[4:5], v[12:15] offset:16
	flat_load_b32 v21, v[6:7]
	s_clause 0x1
	flat_load_b128 v[12:15], v[8:9]
	flat_load_b128 v[16:19], v[8:9] offset:16
	s_waitcnt vmcnt(1) lgkmcnt(1)
	v_dot4_i32_iu8 v12, v20, v21, v12 neg_lo:[1,1,0]
	flat_store_b32 v[8:9], v12
	flat_load_b32 v12, v[4:5]
	flat_load_b32 v20, v[6:7] offset:4
	s_waitcnt vmcnt(0) lgkmcnt(0)
	v_dot4_i32_iu8 v12, v12, v20, v13 neg_lo:[1,1,0]
	flat_store_b32 v[8:9], v12 offset:4
	flat_load_b32 v12, v[4:5]
	flat_load_b32 v13, v[6:7] offset:8
	s_waitcnt vmcnt(0) lgkmcnt(0)
	v_dot4_i32_iu8 v12, v12, v13, v14 neg_lo:[1,1,0]
	flat_store_b32 v[8:9], v12 offset:8
	;; [unrolled: 5-line block ×3, first 2 shown]
	flat_load_b32 v24, v[4:5] offset:4
	flat_load_b32 v25, v[6:7]
	s_clause 0x1
	flat_load_b128 v[12:15], v[8:9] offset:32
	flat_load_b128 v[20:23], v[8:9] offset:48
	s_waitcnt vmcnt(1) lgkmcnt(1)
	v_dot4_i32_iu8 v12, v24, v25, v12 neg_lo:[1,1,0]
	flat_store_b32 v[8:9], v12 offset:32
	flat_load_b32 v12, v[4:5] offset:4
	flat_load_b32 v24, v[6:7] offset:4
	s_waitcnt vmcnt(0) lgkmcnt(0)
	v_dot4_i32_iu8 v12, v12, v24, v13 neg_lo:[1,1,0]
	flat_store_b32 v[8:9], v12 offset:36
	flat_load_b32 v12, v[4:5] offset:4
	flat_load_b32 v13, v[6:7] offset:8
	s_waitcnt vmcnt(0) lgkmcnt(0)
	v_dot4_i32_iu8 v12, v12, v13, v14 neg_lo:[1,1,0]
	flat_store_b32 v[8:9], v12 offset:40
	flat_load_b32 v12, v[4:5] offset:4
	flat_load_b32 v13, v[6:7] offset:12
	s_waitcnt vmcnt(0) lgkmcnt(0)
	v_dot4_i32_iu8 v12, v12, v13, v15 neg_lo:[1,1,0]
	flat_store_b32 v[8:9], v12 offset:44
	flat_load_b32 v28, v[4:5] offset:8
	flat_load_b32 v29, v[6:7]
	s_clause 0x1
	flat_load_b128 v[12:15], v[8:9] offset:64
	flat_load_b128 v[24:27], v[8:9] offset:80
	s_waitcnt vmcnt(1) lgkmcnt(1)
	v_dot4_i32_iu8 v12, v28, v29, v12 neg_lo:[1,1,0]
	flat_store_b32 v[8:9], v12 offset:64
	flat_load_b32 v12, v[4:5] offset:8
	flat_load_b32 v28, v[6:7] offset:4
	s_waitcnt vmcnt(0) lgkmcnt(0)
	v_dot4_i32_iu8 v12, v12, v28, v13 neg_lo:[1,1,0]
	flat_store_b32 v[8:9], v12 offset:68
	flat_load_b32 v12, v[4:5] offset:8
	flat_load_b32 v13, v[6:7] offset:8
	s_waitcnt vmcnt(0) lgkmcnt(0)
	v_dot4_i32_iu8 v12, v12, v13, v14 neg_lo:[1,1,0]
	flat_store_b32 v[8:9], v12 offset:72
	flat_load_b32 v12, v[4:5] offset:8
	flat_load_b32 v13, v[6:7] offset:12
	s_waitcnt vmcnt(0) lgkmcnt(0)
	v_dot4_i32_iu8 v12, v12, v13, v15 neg_lo:[1,1,0]
	flat_store_b32 v[8:9], v12 offset:76
	;; [unrolled: 23-line block ×3, first 2 shown]
	flat_load_b32 v12, v[4:5]
	flat_load_b32 v13, v[6:7] offset:16
	s_waitcnt vmcnt(0) lgkmcnt(0)
	v_dot4_i32_iu8 v12, v12, v13, v16 neg_lo:[1,1,0]
	flat_store_b32 v[8:9], v12 offset:16
	flat_load_b32 v12, v[4:5]
	flat_load_b32 v13, v[6:7] offset:20
	s_waitcnt vmcnt(0) lgkmcnt(0)
	v_dot4_i32_iu8 v12, v12, v13, v17 neg_lo:[1,1,0]
	flat_store_b32 v[8:9], v12 offset:20
	;; [unrolled: 5-line block ×4, first 2 shown]
	flat_load_b32 v12, v[4:5] offset:4
	flat_load_b32 v13, v[6:7] offset:16
	s_waitcnt vmcnt(0) lgkmcnt(0)
	v_dot4_i32_iu8 v12, v12, v13, v20 neg_lo:[1,1,0]
	flat_store_b32 v[8:9], v12 offset:48
	flat_load_b32 v12, v[4:5] offset:4
	flat_load_b32 v13, v[6:7] offset:20
	s_waitcnt vmcnt(0) lgkmcnt(0)
	v_dot4_i32_iu8 v12, v12, v13, v21 neg_lo:[1,1,0]
	flat_store_b32 v[8:9], v12 offset:52
	;; [unrolled: 5-line block ×12, first 2 shown]
	flat_load_b32 v14, v[0:1] offset:16
	flat_load_b64 v[12:13], v[2:3]
	s_waitcnt vmcnt(1) lgkmcnt(1)
	v_ashrrev_i32_e32 v15, 31, v14
	s_waitcnt vmcnt(0) lgkmcnt(0)
	v_add_co_u32 v12, vcc_lo, v12, v14
	s_delay_alu instid0(VALU_DEP_2) | instskip(NEXT) | instid1(VALU_DEP_2)
	v_add_co_ci_u32_e32 v13, vcc_lo, v13, v15, vcc_lo
	v_add_co_u32 v12, vcc_lo, 0x1000, v12
	s_delay_alu instid0(VALU_DEP_2)
	v_add_co_ci_u32_e32 v13, vcc_lo, 0, v13, vcc_lo
	flat_load_b128 v[12:15], v[12:13] offset:2048
	flat_load_b32 v20, v[4:5] offset:16
	s_waitcnt vmcnt(1) lgkmcnt(1)
	flat_store_b128 v[4:5], v[12:15]
	flat_load_b32 v21, v[6:7]
	s_clause 0x1
	flat_load_b128 v[12:15], v[8:9] offset:128
	flat_load_b128 v[16:19], v[8:9] offset:160
	s_waitcnt vmcnt(1) lgkmcnt(1)
	v_dot4_i32_iu8 v12, v20, v21, v12 neg_lo:[1,1,0]
	flat_store_b32 v[8:9], v12 offset:128
	flat_load_b32 v12, v[4:5] offset:16
	flat_load_b32 v20, v[6:7] offset:4
	s_waitcnt vmcnt(0) lgkmcnt(0)
	v_dot4_i32_iu8 v12, v12, v20, v13 neg_lo:[1,1,0]
	flat_store_b32 v[8:9], v12 offset:132
	flat_load_b32 v12, v[4:5] offset:16
	flat_load_b32 v13, v[6:7] offset:8
	;; [unrolled: 5-line block ×3, first 2 shown]
	s_waitcnt vmcnt(0) lgkmcnt(0)
	v_dot4_i32_iu8 v12, v12, v13, v15 neg_lo:[1,1,0]
	flat_store_b32 v[8:9], v12 offset:140
	flat_load_b32 v12, v[4:5] offset:20
	flat_load_b32 v13, v[6:7]
	s_waitcnt vmcnt(0) lgkmcnt(0)
	v_dot4_i32_iu8 v12, v12, v13, v16 neg_lo:[1,1,0]
	flat_store_b32 v[8:9], v12 offset:160
	flat_load_b32 v12, v[4:5] offset:20
	flat_load_b32 v13, v[6:7] offset:4
	s_waitcnt vmcnt(0) lgkmcnt(0)
	v_dot4_i32_iu8 v12, v12, v13, v17 neg_lo:[1,1,0]
	flat_store_b32 v[8:9], v12 offset:164
	flat_load_b32 v12, v[4:5] offset:20
	flat_load_b32 v13, v[6:7] offset:8
	;; [unrolled: 5-line block ×3, first 2 shown]
	s_waitcnt vmcnt(0) lgkmcnt(0)
	v_dot4_i32_iu8 v12, v12, v13, v19 neg_lo:[1,1,0]
	flat_store_b32 v[8:9], v12 offset:172
	flat_load_b32 v20, v[4:5] offset:24
	flat_load_b32 v21, v[6:7]
	s_clause 0x1
	flat_load_b128 v[12:15], v[8:9] offset:192
	flat_load_b128 v[16:19], v[8:9] offset:224
	s_waitcnt vmcnt(1) lgkmcnt(1)
	v_dot4_i32_iu8 v12, v20, v21, v12 neg_lo:[1,1,0]
	flat_store_b32 v[8:9], v12 offset:192
	flat_load_b32 v12, v[4:5] offset:24
	flat_load_b32 v20, v[6:7] offset:4
	s_waitcnt vmcnt(0) lgkmcnt(0)
	v_dot4_i32_iu8 v12, v12, v20, v13 neg_lo:[1,1,0]
	flat_store_b32 v[8:9], v12 offset:196
	flat_load_b32 v12, v[4:5] offset:24
	flat_load_b32 v13, v[6:7] offset:8
	;; [unrolled: 5-line block ×3, first 2 shown]
	s_waitcnt vmcnt(0) lgkmcnt(0)
	v_dot4_i32_iu8 v12, v12, v13, v15 neg_lo:[1,1,0]
	flat_store_b32 v[8:9], v12 offset:204
	flat_load_b32 v12, v[4:5] offset:28
	flat_load_b32 v13, v[6:7]
	s_waitcnt vmcnt(0) lgkmcnt(0)
	v_dot4_i32_iu8 v12, v12, v13, v16 neg_lo:[1,1,0]
	flat_store_b32 v[8:9], v12 offset:224
	flat_load_b32 v12, v[4:5] offset:28
	flat_load_b32 v13, v[6:7] offset:4
	s_waitcnt vmcnt(0) lgkmcnt(0)
	v_dot4_i32_iu8 v12, v12, v13, v17 neg_lo:[1,1,0]
	flat_store_b32 v[8:9], v12 offset:228
	flat_load_b32 v12, v[4:5] offset:28
	flat_load_b32 v13, v[6:7] offset:8
	;; [unrolled: 5-line block ×3, first 2 shown]
	s_waitcnt vmcnt(0) lgkmcnt(0)
	v_dot4_i32_iu8 v12, v12, v13, v19 neg_lo:[1,1,0]
	flat_store_b32 v[8:9], v12 offset:236
	flat_load_b32 v14, v[0:1] offset:48
	flat_load_b64 v[12:13], v[10:11]
	s_waitcnt vmcnt(1) lgkmcnt(1)
	v_ashrrev_i32_e32 v15, 31, v14
	s_waitcnt vmcnt(0) lgkmcnt(0)
	v_add_co_u32 v12, vcc_lo, v12, v14
	s_delay_alu instid0(VALU_DEP_2) | instskip(NEXT) | instid1(VALU_DEP_2)
	v_add_co_ci_u32_e32 v13, vcc_lo, v13, v15, vcc_lo
	v_add_co_u32 v12, vcc_lo, 0x1000, v12
	s_delay_alu instid0(VALU_DEP_2)
	v_add_co_ci_u32_e32 v13, vcc_lo, 0, v13, vcc_lo
	flat_load_b128 v[12:15], v[12:13] offset:2048
	flat_load_b32 v20, v[6:7] offset:16
	s_waitcnt vmcnt(1) lgkmcnt(1)
	flat_store_b128 v[6:7], v[12:15]
	flat_load_b32 v21, v[4:5] offset:16
	s_clause 0x1
	flat_load_b128 v[12:15], v[8:9] offset:144
	flat_load_b128 v[16:19], v[8:9] offset:176
	s_waitcnt vmcnt(1) lgkmcnt(1)
	v_dot4_i32_iu8 v12, v21, v20, v12 neg_lo:[1,1,0]
	flat_store_b32 v[8:9], v12 offset:144
	flat_load_b32 v12, v[4:5] offset:16
	flat_load_b32 v20, v[6:7] offset:20
	s_waitcnt vmcnt(0) lgkmcnt(0)
	v_dot4_i32_iu8 v12, v12, v20, v13 neg_lo:[1,1,0]
	flat_store_b32 v[8:9], v12 offset:148
	flat_load_b32 v12, v[4:5] offset:16
	flat_load_b32 v13, v[6:7] offset:24
	;; [unrolled: 5-line block ×8, first 2 shown]
	s_clause 0x1
	flat_load_b128 v[12:15], v[8:9] offset:208
	flat_load_b128 v[16:19], v[8:9] offset:240
	s_waitcnt vmcnt(1) lgkmcnt(1)
	v_dot4_i32_iu8 v12, v20, v21, v12 neg_lo:[1,1,0]
	flat_store_b32 v[8:9], v12 offset:208
	flat_load_b32 v12, v[4:5] offset:24
	flat_load_b32 v20, v[6:7] offset:20
	s_waitcnt vmcnt(0) lgkmcnt(0)
	v_dot4_i32_iu8 v12, v12, v20, v13 neg_lo:[1,1,0]
	flat_store_b32 v[8:9], v12 offset:212
	flat_load_b32 v12, v[4:5] offset:24
	flat_load_b32 v13, v[6:7] offset:24
	s_waitcnt vmcnt(0) lgkmcnt(0)
	v_dot4_i32_iu8 v12, v12, v13, v14 neg_lo:[1,1,0]
	flat_store_b32 v[8:9], v12 offset:216
	flat_load_b32 v12, v[4:5] offset:24
	flat_load_b32 v13, v[6:7] offset:28
	s_waitcnt vmcnt(0) lgkmcnt(0)
	v_dot4_i32_iu8 v12, v12, v13, v15 neg_lo:[1,1,0]
	flat_store_b32 v[8:9], v12 offset:220
	flat_load_b32 v12, v[4:5] offset:28
	flat_load_b32 v13, v[6:7] offset:16
	s_waitcnt vmcnt(0) lgkmcnt(0)
	v_dot4_i32_iu8 v12, v12, v13, v16 neg_lo:[1,1,0]
	flat_store_b32 v[8:9], v12 offset:240
	flat_load_b32 v12, v[4:5] offset:28
	flat_load_b32 v13, v[6:7] offset:20
	s_waitcnt vmcnt(0) lgkmcnt(0)
	v_dot4_i32_iu8 v12, v12, v13, v17 neg_lo:[1,1,0]
	flat_store_b32 v[8:9], v12 offset:244
	flat_load_b32 v12, v[4:5] offset:28
	flat_load_b32 v13, v[6:7] offset:24
	s_waitcnt vmcnt(0) lgkmcnt(0)
	v_dot4_i32_iu8 v12, v12, v13, v18 neg_lo:[1,1,0]
	flat_store_b32 v[8:9], v12 offset:248
	flat_load_b32 v12, v[4:5] offset:28
	flat_load_b32 v13, v[6:7] offset:28
	s_waitcnt vmcnt(0) lgkmcnt(0)
	v_dot4_i32_iu8 v12, v12, v13, v19 neg_lo:[1,1,0]
	flat_store_b32 v[8:9], v12 offset:252
	flat_load_b32 v14, v[0:1] offset:48
	flat_load_b64 v[12:13], v[10:11]
	s_waitcnt vmcnt(1) lgkmcnt(1)
	v_ashrrev_i32_e32 v15, 31, v14
	s_waitcnt vmcnt(0) lgkmcnt(0)
	v_add_co_u32 v12, vcc_lo, v12, v14
	s_delay_alu instid0(VALU_DEP_2) | instskip(NEXT) | instid1(VALU_DEP_2)
	v_add_co_ci_u32_e32 v13, vcc_lo, v13, v15, vcc_lo
	v_add_co_u32 v12, vcc_lo, 0x1000, v12
	s_delay_alu instid0(VALU_DEP_2)
	v_add_co_ci_u32_e32 v13, vcc_lo, 0, v13, vcc_lo
	flat_load_b128 v[12:15], v[12:13] offset:2304
	s_waitcnt vmcnt(0) lgkmcnt(0)
	flat_store_b128 v[6:7], v[12:15] offset:16
	flat_load_b32 v14, v[0:1] offset:16
	flat_load_b64 v[12:13], v[2:3]
	s_waitcnt vmcnt(1) lgkmcnt(1)
	v_ashrrev_i32_e32 v15, 31, v14
	s_waitcnt vmcnt(0) lgkmcnt(0)
	v_add_co_u32 v12, vcc_lo, v12, v14
	s_delay_alu instid0(VALU_DEP_2) | instskip(NEXT) | instid1(VALU_DEP_2)
	v_add_co_ci_u32_e32 v13, vcc_lo, v13, v15, vcc_lo
	v_add_co_u32 v12, vcc_lo, 0x1000, v12
	s_delay_alu instid0(VALU_DEP_2)
	v_add_co_ci_u32_e32 v13, vcc_lo, 0, v13, vcc_lo
	flat_load_b128 v[12:15], v[12:13] offset:2304
	flat_load_b32 v20, v[4:5]
	s_waitcnt vmcnt(1) lgkmcnt(1)
	flat_store_b128 v[4:5], v[12:15] offset:16
	flat_load_b32 v21, v[6:7]
	s_clause 0x1
	flat_load_b128 v[12:15], v[8:9]
	flat_load_b128 v[16:19], v[8:9] offset:16
	s_waitcnt vmcnt(1) lgkmcnt(1)
	v_dot4_i32_iu8 v12, v20, v21, v12 neg_lo:[1,1,0]
	flat_store_b32 v[8:9], v12
	flat_load_b32 v12, v[4:5]
	flat_load_b32 v20, v[6:7] offset:4
	s_waitcnt vmcnt(0) lgkmcnt(0)
	v_dot4_i32_iu8 v12, v12, v20, v13 neg_lo:[1,1,0]
	flat_store_b32 v[8:9], v12 offset:4
	flat_load_b32 v12, v[4:5]
	flat_load_b32 v13, v[6:7] offset:8
	s_waitcnt vmcnt(0) lgkmcnt(0)
	v_dot4_i32_iu8 v12, v12, v13, v14 neg_lo:[1,1,0]
	flat_store_b32 v[8:9], v12 offset:8
	;; [unrolled: 5-line block ×3, first 2 shown]
	flat_load_b32 v24, v[4:5] offset:4
	flat_load_b32 v25, v[6:7]
	s_clause 0x1
	flat_load_b128 v[12:15], v[8:9] offset:32
	flat_load_b128 v[20:23], v[8:9] offset:48
	s_waitcnt vmcnt(1) lgkmcnt(1)
	v_dot4_i32_iu8 v12, v24, v25, v12 neg_lo:[1,1,0]
	flat_store_b32 v[8:9], v12 offset:32
	flat_load_b32 v12, v[4:5] offset:4
	flat_load_b32 v24, v[6:7] offset:4
	s_waitcnt vmcnt(0) lgkmcnt(0)
	v_dot4_i32_iu8 v12, v12, v24, v13 neg_lo:[1,1,0]
	flat_store_b32 v[8:9], v12 offset:36
	flat_load_b32 v12, v[4:5] offset:4
	flat_load_b32 v13, v[6:7] offset:8
	s_waitcnt vmcnt(0) lgkmcnt(0)
	v_dot4_i32_iu8 v12, v12, v13, v14 neg_lo:[1,1,0]
	flat_store_b32 v[8:9], v12 offset:40
	flat_load_b32 v12, v[4:5] offset:4
	flat_load_b32 v13, v[6:7] offset:12
	s_waitcnt vmcnt(0) lgkmcnt(0)
	v_dot4_i32_iu8 v12, v12, v13, v15 neg_lo:[1,1,0]
	flat_store_b32 v[8:9], v12 offset:44
	flat_load_b32 v28, v[4:5] offset:8
	flat_load_b32 v29, v[6:7]
	s_clause 0x1
	flat_load_b128 v[12:15], v[8:9] offset:64
	flat_load_b128 v[24:27], v[8:9] offset:80
	s_waitcnt vmcnt(1) lgkmcnt(1)
	v_dot4_i32_iu8 v12, v28, v29, v12 neg_lo:[1,1,0]
	flat_store_b32 v[8:9], v12 offset:64
	flat_load_b32 v12, v[4:5] offset:8
	flat_load_b32 v28, v[6:7] offset:4
	s_waitcnt vmcnt(0) lgkmcnt(0)
	v_dot4_i32_iu8 v12, v12, v28, v13 neg_lo:[1,1,0]
	flat_store_b32 v[8:9], v12 offset:68
	flat_load_b32 v12, v[4:5] offset:8
	flat_load_b32 v13, v[6:7] offset:8
	s_waitcnt vmcnt(0) lgkmcnt(0)
	v_dot4_i32_iu8 v12, v12, v13, v14 neg_lo:[1,1,0]
	flat_store_b32 v[8:9], v12 offset:72
	flat_load_b32 v12, v[4:5] offset:8
	flat_load_b32 v13, v[6:7] offset:12
	s_waitcnt vmcnt(0) lgkmcnt(0)
	v_dot4_i32_iu8 v12, v12, v13, v15 neg_lo:[1,1,0]
	flat_store_b32 v[8:9], v12 offset:76
	;; [unrolled: 23-line block ×3, first 2 shown]
	flat_load_b32 v12, v[4:5]
	flat_load_b32 v13, v[6:7] offset:16
	s_waitcnt vmcnt(0) lgkmcnt(0)
	v_dot4_i32_iu8 v12, v12, v13, v16 neg_lo:[1,1,0]
	flat_store_b32 v[8:9], v12 offset:16
	flat_load_b32 v12, v[4:5]
	flat_load_b32 v13, v[6:7] offset:20
	s_waitcnt vmcnt(0) lgkmcnt(0)
	v_dot4_i32_iu8 v12, v12, v13, v17 neg_lo:[1,1,0]
	flat_store_b32 v[8:9], v12 offset:20
	;; [unrolled: 5-line block ×4, first 2 shown]
	flat_load_b32 v12, v[4:5] offset:4
	flat_load_b32 v13, v[6:7] offset:16
	s_waitcnt vmcnt(0) lgkmcnt(0)
	v_dot4_i32_iu8 v12, v12, v13, v20 neg_lo:[1,1,0]
	flat_store_b32 v[8:9], v12 offset:48
	flat_load_b32 v12, v[4:5] offset:4
	flat_load_b32 v13, v[6:7] offset:20
	s_waitcnt vmcnt(0) lgkmcnt(0)
	v_dot4_i32_iu8 v12, v12, v13, v21 neg_lo:[1,1,0]
	flat_store_b32 v[8:9], v12 offset:52
	;; [unrolled: 5-line block ×12, first 2 shown]
	flat_load_b32 v14, v[0:1] offset:16
	flat_load_b64 v[12:13], v[2:3]
	s_waitcnt vmcnt(1) lgkmcnt(1)
	v_ashrrev_i32_e32 v15, 31, v14
	s_waitcnt vmcnt(0) lgkmcnt(0)
	v_add_co_u32 v12, vcc_lo, v12, v14
	s_delay_alu instid0(VALU_DEP_2) | instskip(NEXT) | instid1(VALU_DEP_2)
	v_add_co_ci_u32_e32 v13, vcc_lo, v13, v15, vcc_lo
	v_add_co_u32 v12, vcc_lo, 0x1000, v12
	s_delay_alu instid0(VALU_DEP_2)
	v_add_co_ci_u32_e32 v13, vcc_lo, 0, v13, vcc_lo
	flat_load_b128 v[12:15], v[12:13] offset:2560
	flat_load_b32 v20, v[4:5] offset:16
	s_waitcnt vmcnt(1) lgkmcnt(1)
	flat_store_b128 v[4:5], v[12:15]
	flat_load_b32 v21, v[6:7]
	s_clause 0x1
	flat_load_b128 v[12:15], v[8:9] offset:128
	flat_load_b128 v[16:19], v[8:9] offset:160
	s_waitcnt vmcnt(1) lgkmcnt(1)
	v_dot4_i32_iu8 v12, v20, v21, v12 neg_lo:[1,1,0]
	flat_store_b32 v[8:9], v12 offset:128
	flat_load_b32 v12, v[4:5] offset:16
	flat_load_b32 v20, v[6:7] offset:4
	s_waitcnt vmcnt(0) lgkmcnt(0)
	v_dot4_i32_iu8 v12, v12, v20, v13 neg_lo:[1,1,0]
	flat_store_b32 v[8:9], v12 offset:132
	flat_load_b32 v12, v[4:5] offset:16
	flat_load_b32 v13, v[6:7] offset:8
	;; [unrolled: 5-line block ×3, first 2 shown]
	s_waitcnt vmcnt(0) lgkmcnt(0)
	v_dot4_i32_iu8 v12, v12, v13, v15 neg_lo:[1,1,0]
	flat_store_b32 v[8:9], v12 offset:140
	flat_load_b32 v12, v[4:5] offset:20
	flat_load_b32 v13, v[6:7]
	s_waitcnt vmcnt(0) lgkmcnt(0)
	v_dot4_i32_iu8 v12, v12, v13, v16 neg_lo:[1,1,0]
	flat_store_b32 v[8:9], v12 offset:160
	flat_load_b32 v12, v[4:5] offset:20
	flat_load_b32 v13, v[6:7] offset:4
	s_waitcnt vmcnt(0) lgkmcnt(0)
	v_dot4_i32_iu8 v12, v12, v13, v17 neg_lo:[1,1,0]
	flat_store_b32 v[8:9], v12 offset:164
	flat_load_b32 v12, v[4:5] offset:20
	flat_load_b32 v13, v[6:7] offset:8
	;; [unrolled: 5-line block ×3, first 2 shown]
	s_waitcnt vmcnt(0) lgkmcnt(0)
	v_dot4_i32_iu8 v12, v12, v13, v19 neg_lo:[1,1,0]
	flat_store_b32 v[8:9], v12 offset:172
	flat_load_b32 v20, v[4:5] offset:24
	flat_load_b32 v21, v[6:7]
	s_clause 0x1
	flat_load_b128 v[12:15], v[8:9] offset:192
	flat_load_b128 v[16:19], v[8:9] offset:224
	s_waitcnt vmcnt(1) lgkmcnt(1)
	v_dot4_i32_iu8 v12, v20, v21, v12 neg_lo:[1,1,0]
	flat_store_b32 v[8:9], v12 offset:192
	flat_load_b32 v12, v[4:5] offset:24
	flat_load_b32 v20, v[6:7] offset:4
	s_waitcnt vmcnt(0) lgkmcnt(0)
	v_dot4_i32_iu8 v12, v12, v20, v13 neg_lo:[1,1,0]
	flat_store_b32 v[8:9], v12 offset:196
	flat_load_b32 v12, v[4:5] offset:24
	flat_load_b32 v13, v[6:7] offset:8
	;; [unrolled: 5-line block ×3, first 2 shown]
	s_waitcnt vmcnt(0) lgkmcnt(0)
	v_dot4_i32_iu8 v12, v12, v13, v15 neg_lo:[1,1,0]
	flat_store_b32 v[8:9], v12 offset:204
	flat_load_b32 v12, v[4:5] offset:28
	flat_load_b32 v13, v[6:7]
	s_waitcnt vmcnt(0) lgkmcnt(0)
	v_dot4_i32_iu8 v12, v12, v13, v16 neg_lo:[1,1,0]
	flat_store_b32 v[8:9], v12 offset:224
	flat_load_b32 v12, v[4:5] offset:28
	flat_load_b32 v13, v[6:7] offset:4
	s_waitcnt vmcnt(0) lgkmcnt(0)
	v_dot4_i32_iu8 v12, v12, v13, v17 neg_lo:[1,1,0]
	flat_store_b32 v[8:9], v12 offset:228
	flat_load_b32 v12, v[4:5] offset:28
	flat_load_b32 v13, v[6:7] offset:8
	;; [unrolled: 5-line block ×3, first 2 shown]
	s_waitcnt vmcnt(0) lgkmcnt(0)
	v_dot4_i32_iu8 v12, v12, v13, v19 neg_lo:[1,1,0]
	flat_store_b32 v[8:9], v12 offset:236
	flat_load_b32 v14, v[0:1] offset:48
	flat_load_b64 v[12:13], v[10:11]
	s_waitcnt vmcnt(1) lgkmcnt(1)
	v_ashrrev_i32_e32 v15, 31, v14
	s_waitcnt vmcnt(0) lgkmcnt(0)
	v_add_co_u32 v12, vcc_lo, v12, v14
	s_delay_alu instid0(VALU_DEP_2) | instskip(NEXT) | instid1(VALU_DEP_2)
	v_add_co_ci_u32_e32 v13, vcc_lo, v13, v15, vcc_lo
	v_add_co_u32 v12, vcc_lo, 0x1000, v12
	s_delay_alu instid0(VALU_DEP_2)
	v_add_co_ci_u32_e32 v13, vcc_lo, 0, v13, vcc_lo
	flat_load_b128 v[12:15], v[12:13] offset:2560
	flat_load_b32 v20, v[6:7] offset:16
	s_waitcnt vmcnt(1) lgkmcnt(1)
	flat_store_b128 v[6:7], v[12:15]
	flat_load_b32 v21, v[4:5] offset:16
	s_clause 0x1
	flat_load_b128 v[12:15], v[8:9] offset:144
	flat_load_b128 v[16:19], v[8:9] offset:176
	s_waitcnt vmcnt(1) lgkmcnt(1)
	v_dot4_i32_iu8 v12, v21, v20, v12 neg_lo:[1,1,0]
	flat_store_b32 v[8:9], v12 offset:144
	flat_load_b32 v12, v[4:5] offset:16
	flat_load_b32 v20, v[6:7] offset:20
	s_waitcnt vmcnt(0) lgkmcnt(0)
	v_dot4_i32_iu8 v12, v12, v20, v13 neg_lo:[1,1,0]
	flat_store_b32 v[8:9], v12 offset:148
	flat_load_b32 v12, v[4:5] offset:16
	flat_load_b32 v13, v[6:7] offset:24
	;; [unrolled: 5-line block ×8, first 2 shown]
	s_clause 0x1
	flat_load_b128 v[12:15], v[8:9] offset:208
	flat_load_b128 v[16:19], v[8:9] offset:240
	s_waitcnt vmcnt(1) lgkmcnt(1)
	v_dot4_i32_iu8 v12, v20, v21, v12 neg_lo:[1,1,0]
	flat_store_b32 v[8:9], v12 offset:208
	flat_load_b32 v12, v[4:5] offset:24
	flat_load_b32 v20, v[6:7] offset:20
	s_waitcnt vmcnt(0) lgkmcnt(0)
	v_dot4_i32_iu8 v12, v12, v20, v13 neg_lo:[1,1,0]
	flat_store_b32 v[8:9], v12 offset:212
	flat_load_b32 v12, v[4:5] offset:24
	flat_load_b32 v13, v[6:7] offset:24
	;; [unrolled: 5-line block ×7, first 2 shown]
	s_waitcnt vmcnt(0) lgkmcnt(0)
	v_dot4_i32_iu8 v12, v12, v13, v19 neg_lo:[1,1,0]
	flat_store_b32 v[8:9], v12 offset:252
	flat_load_b32 v14, v[0:1] offset:48
	flat_load_b64 v[12:13], v[10:11]
	s_waitcnt vmcnt(1) lgkmcnt(1)
	v_ashrrev_i32_e32 v15, 31, v14
	s_waitcnt vmcnt(0) lgkmcnt(0)
	v_add_co_u32 v12, vcc_lo, v12, v14
	s_delay_alu instid0(VALU_DEP_2) | instskip(NEXT) | instid1(VALU_DEP_2)
	v_add_co_ci_u32_e32 v13, vcc_lo, v13, v15, vcc_lo
	v_add_co_u32 v12, vcc_lo, 0x1000, v12
	s_delay_alu instid0(VALU_DEP_2)
	v_add_co_ci_u32_e32 v13, vcc_lo, 0, v13, vcc_lo
	flat_load_b128 v[12:15], v[12:13] offset:2816
	s_waitcnt vmcnt(0) lgkmcnt(0)
	flat_store_b128 v[6:7], v[12:15] offset:16
	flat_load_b32 v14, v[0:1] offset:16
	flat_load_b64 v[12:13], v[2:3]
	s_waitcnt vmcnt(1) lgkmcnt(1)
	v_ashrrev_i32_e32 v15, 31, v14
	s_waitcnt vmcnt(0) lgkmcnt(0)
	v_add_co_u32 v12, vcc_lo, v12, v14
	s_delay_alu instid0(VALU_DEP_2) | instskip(NEXT) | instid1(VALU_DEP_2)
	v_add_co_ci_u32_e32 v13, vcc_lo, v13, v15, vcc_lo
	v_add_co_u32 v12, vcc_lo, 0x1000, v12
	s_delay_alu instid0(VALU_DEP_2)
	v_add_co_ci_u32_e32 v13, vcc_lo, 0, v13, vcc_lo
	flat_load_b128 v[12:15], v[12:13] offset:2816
	flat_load_b32 v16, v[4:5]
	s_waitcnt vmcnt(1) lgkmcnt(1)
	flat_store_b128 v[4:5], v[12:15] offset:16
	flat_load_b32 v17, v[6:7]
	flat_load_b128 v[12:15], v[8:9]
	s_waitcnt vmcnt(0) lgkmcnt(0)
	v_dot4_i32_iu8 v12, v16, v17, v12 neg_lo:[1,1,0]
	flat_store_b32 v[8:9], v12
	flat_load_b32 v12, v[4:5]
	flat_load_b32 v16, v[6:7] offset:4
	s_waitcnt vmcnt(0) lgkmcnt(0)
	v_dot4_i32_iu8 v12, v12, v16, v13 neg_lo:[1,1,0]
	flat_store_b32 v[8:9], v12 offset:4
	flat_load_b32 v12, v[4:5]
	flat_load_b32 v13, v[6:7] offset:8
	s_waitcnt vmcnt(0) lgkmcnt(0)
	v_dot4_i32_iu8 v12, v12, v13, v14 neg_lo:[1,1,0]
	flat_store_b32 v[8:9], v12 offset:8
	flat_load_b32 v12, v[4:5]
	flat_load_b32 v13, v[6:7] offset:12
	s_waitcnt vmcnt(0) lgkmcnt(0)
	v_dot4_i32_iu8 v16, v12, v13, v15 neg_lo:[1,1,0]
	flat_load_b128 v[12:15], v[8:9] offset:32
	flat_store_b32 v[8:9], v16 offset:12
	flat_load_b32 v16, v[4:5] offset:4
	flat_load_b32 v17, v[6:7]
	s_waitcnt vmcnt(0) lgkmcnt(0)
	v_dot4_i32_iu8 v12, v16, v17, v12 neg_lo:[1,1,0]
	flat_store_b32 v[8:9], v12 offset:32
	flat_load_b32 v12, v[4:5] offset:4
	flat_load_b32 v16, v[6:7] offset:4
	s_waitcnt vmcnt(0) lgkmcnt(0)
	v_dot4_i32_iu8 v12, v12, v16, v13 neg_lo:[1,1,0]
	flat_store_b32 v[8:9], v12 offset:36
	flat_load_b32 v12, v[4:5] offset:4
	flat_load_b32 v13, v[6:7] offset:8
	s_waitcnt vmcnt(0) lgkmcnt(0)
	v_dot4_i32_iu8 v12, v12, v13, v14 neg_lo:[1,1,0]
	flat_store_b32 v[8:9], v12 offset:40
	flat_load_b32 v12, v[4:5] offset:4
	flat_load_b32 v13, v[6:7] offset:12
	s_waitcnt vmcnt(0) lgkmcnt(0)
	v_dot4_i32_iu8 v16, v12, v13, v15 neg_lo:[1,1,0]
	flat_load_b128 v[12:15], v[8:9] offset:64
	flat_store_b32 v[8:9], v16 offset:44
	flat_load_b32 v16, v[4:5] offset:8
	flat_load_b32 v17, v[6:7]
	s_waitcnt vmcnt(0) lgkmcnt(0)
	v_dot4_i32_iu8 v12, v16, v17, v12 neg_lo:[1,1,0]
	flat_store_b32 v[8:9], v12 offset:64
	flat_load_b32 v12, v[4:5] offset:8
	flat_load_b32 v16, v[6:7] offset:4
	s_waitcnt vmcnt(0) lgkmcnt(0)
	v_dot4_i32_iu8 v12, v12, v16, v13 neg_lo:[1,1,0]
	flat_store_b32 v[8:9], v12 offset:68
	flat_load_b32 v12, v[4:5] offset:8
	flat_load_b32 v13, v[6:7] offset:8
	s_waitcnt vmcnt(0) lgkmcnt(0)
	v_dot4_i32_iu8 v12, v12, v13, v14 neg_lo:[1,1,0]
	flat_store_b32 v[8:9], v12 offset:72
	flat_load_b32 v12, v[4:5] offset:8
	;; [unrolled: 21-line block ×3, first 2 shown]
	flat_load_b32 v13, v[6:7] offset:12
	s_waitcnt vmcnt(0) lgkmcnt(0)
	v_dot4_i32_iu8 v12, v12, v13, v15 neg_lo:[1,1,0]
	flat_store_b32 v[8:9], v12 offset:108
	flat_load_b32 v16, v[4:5]
	flat_load_b32 v17, v[6:7] offset:16
	flat_load_b128 v[12:15], v[8:9] offset:16
	s_waitcnt vmcnt(0) lgkmcnt(0)
	v_dot4_i32_iu8 v12, v16, v17, v12 neg_lo:[1,1,0]
	flat_store_b32 v[8:9], v12 offset:16
	flat_load_b32 v12, v[4:5]
	flat_load_b32 v16, v[6:7] offset:20
	s_waitcnt vmcnt(0) lgkmcnt(0)
	v_dot4_i32_iu8 v12, v12, v16, v13 neg_lo:[1,1,0]
	flat_store_b32 v[8:9], v12 offset:20
	flat_load_b32 v12, v[4:5]
	flat_load_b32 v13, v[6:7] offset:24
	;; [unrolled: 5-line block ×3, first 2 shown]
	s_waitcnt vmcnt(0) lgkmcnt(0)
	v_dot4_i32_iu8 v16, v12, v13, v15 neg_lo:[1,1,0]
	flat_load_b128 v[12:15], v[8:9] offset:48
	flat_store_b32 v[8:9], v16 offset:28
	flat_load_b32 v16, v[4:5] offset:4
	flat_load_b32 v17, v[6:7] offset:16
	s_waitcnt vmcnt(0) lgkmcnt(0)
	v_dot4_i32_iu8 v12, v16, v17, v12 neg_lo:[1,1,0]
	flat_store_b32 v[8:9], v12 offset:48
	flat_load_b32 v12, v[4:5] offset:4
	flat_load_b32 v16, v[6:7] offset:20
	s_waitcnt vmcnt(0) lgkmcnt(0)
	v_dot4_i32_iu8 v12, v12, v16, v13 neg_lo:[1,1,0]
	flat_store_b32 v[8:9], v12 offset:52
	flat_load_b32 v12, v[4:5] offset:4
	flat_load_b32 v13, v[6:7] offset:24
	s_waitcnt vmcnt(0) lgkmcnt(0)
	v_dot4_i32_iu8 v12, v12, v13, v14 neg_lo:[1,1,0]
	flat_store_b32 v[8:9], v12 offset:56
	flat_load_b32 v12, v[4:5] offset:4
	flat_load_b32 v13, v[6:7] offset:28
	s_waitcnt vmcnt(0) lgkmcnt(0)
	v_dot4_i32_iu8 v16, v12, v13, v15 neg_lo:[1,1,0]
	flat_load_b128 v[12:15], v[8:9] offset:80
	flat_store_b32 v[8:9], v16 offset:60
	flat_load_b32 v16, v[4:5] offset:8
	flat_load_b32 v17, v[6:7] offset:16
	s_waitcnt vmcnt(0) lgkmcnt(0)
	v_dot4_i32_iu8 v12, v16, v17, v12 neg_lo:[1,1,0]
	flat_store_b32 v[8:9], v12 offset:80
	flat_load_b32 v12, v[4:5] offset:8
	flat_load_b32 v16, v[6:7] offset:20
	s_waitcnt vmcnt(0) lgkmcnt(0)
	v_dot4_i32_iu8 v12, v12, v16, v13 neg_lo:[1,1,0]
	flat_store_b32 v[8:9], v12 offset:84
	flat_load_b32 v12, v[4:5] offset:8
	flat_load_b32 v13, v[6:7] offset:24
	s_waitcnt vmcnt(0) lgkmcnt(0)
	v_dot4_i32_iu8 v12, v12, v13, v14 neg_lo:[1,1,0]
	flat_store_b32 v[8:9], v12 offset:88
	flat_load_b32 v12, v[4:5] offset:8
	flat_load_b32 v13, v[6:7] offset:28
	;; [unrolled: 21-line block ×3, first 2 shown]
	s_waitcnt vmcnt(0) lgkmcnt(0)
	v_dot4_i32_iu8 v12, v12, v13, v15 neg_lo:[1,1,0]
	flat_store_b32 v[8:9], v12 offset:124
	flat_load_b32 v14, v[0:1] offset:16
	flat_load_b64 v[12:13], v[2:3]
	s_waitcnt vmcnt(1) lgkmcnt(1)
	v_ashrrev_i32_e32 v15, 31, v14
	s_waitcnt vmcnt(0) lgkmcnt(0)
	v_add_co_u32 v12, vcc_lo, v12, v14
	s_delay_alu instid0(VALU_DEP_2) | instskip(NEXT) | instid1(VALU_DEP_2)
	v_add_co_ci_u32_e32 v13, vcc_lo, v13, v15, vcc_lo
	v_add_co_u32 v12, vcc_lo, 0x1000, v12
	s_delay_alu instid0(VALU_DEP_2)
	v_add_co_ci_u32_e32 v13, vcc_lo, 0, v13, vcc_lo
	flat_load_b128 v[12:15], v[12:13] offset:3072
	flat_load_b32 v20, v[4:5] offset:16
	s_waitcnt vmcnt(1) lgkmcnt(1)
	flat_store_b128 v[4:5], v[12:15]
	flat_load_b32 v21, v[6:7]
	s_clause 0x1
	flat_load_b128 v[12:15], v[8:9] offset:128
	flat_load_b128 v[16:19], v[8:9] offset:160
	s_waitcnt vmcnt(1) lgkmcnt(1)
	v_dot4_i32_iu8 v12, v20, v21, v12 neg_lo:[1,1,0]
	flat_store_b32 v[8:9], v12 offset:128
	flat_load_b32 v12, v[4:5] offset:16
	flat_load_b32 v20, v[6:7] offset:4
	s_waitcnt vmcnt(0) lgkmcnt(0)
	v_dot4_i32_iu8 v12, v12, v20, v13 neg_lo:[1,1,0]
	flat_store_b32 v[8:9], v12 offset:132
	flat_load_b32 v12, v[4:5] offset:16
	flat_load_b32 v13, v[6:7] offset:8
	;; [unrolled: 5-line block ×3, first 2 shown]
	s_waitcnt vmcnt(0) lgkmcnt(0)
	v_dot4_i32_iu8 v12, v12, v13, v15 neg_lo:[1,1,0]
	flat_store_b32 v[8:9], v12 offset:140
	flat_load_b32 v12, v[4:5] offset:20
	flat_load_b32 v13, v[6:7]
	s_waitcnt vmcnt(0) lgkmcnt(0)
	v_dot4_i32_iu8 v12, v12, v13, v16 neg_lo:[1,1,0]
	flat_store_b32 v[8:9], v12 offset:160
	flat_load_b32 v12, v[4:5] offset:20
	flat_load_b32 v13, v[6:7] offset:4
	s_waitcnt vmcnt(0) lgkmcnt(0)
	v_dot4_i32_iu8 v12, v12, v13, v17 neg_lo:[1,1,0]
	flat_store_b32 v[8:9], v12 offset:164
	flat_load_b32 v12, v[4:5] offset:20
	flat_load_b32 v13, v[6:7] offset:8
	;; [unrolled: 5-line block ×3, first 2 shown]
	s_waitcnt vmcnt(0) lgkmcnt(0)
	v_dot4_i32_iu8 v12, v12, v13, v19 neg_lo:[1,1,0]
	flat_store_b32 v[8:9], v12 offset:172
	flat_load_b32 v20, v[4:5] offset:24
	flat_load_b32 v21, v[6:7]
	s_clause 0x1
	flat_load_b128 v[12:15], v[8:9] offset:192
	flat_load_b128 v[16:19], v[8:9] offset:224
	s_waitcnt vmcnt(1) lgkmcnt(1)
	v_dot4_i32_iu8 v12, v20, v21, v12 neg_lo:[1,1,0]
	flat_store_b32 v[8:9], v12 offset:192
	flat_load_b32 v12, v[4:5] offset:24
	flat_load_b32 v20, v[6:7] offset:4
	s_waitcnt vmcnt(0) lgkmcnt(0)
	v_dot4_i32_iu8 v12, v12, v20, v13 neg_lo:[1,1,0]
	flat_store_b32 v[8:9], v12 offset:196
	flat_load_b32 v12, v[4:5] offset:24
	flat_load_b32 v13, v[6:7] offset:8
	;; [unrolled: 5-line block ×3, first 2 shown]
	s_waitcnt vmcnt(0) lgkmcnt(0)
	v_dot4_i32_iu8 v12, v12, v13, v15 neg_lo:[1,1,0]
	flat_store_b32 v[8:9], v12 offset:204
	flat_load_b32 v12, v[4:5] offset:28
	flat_load_b32 v13, v[6:7]
	s_waitcnt vmcnt(0) lgkmcnt(0)
	v_dot4_i32_iu8 v12, v12, v13, v16 neg_lo:[1,1,0]
	flat_store_b32 v[8:9], v12 offset:224
	flat_load_b32 v12, v[4:5] offset:28
	flat_load_b32 v13, v[6:7] offset:4
	s_waitcnt vmcnt(0) lgkmcnt(0)
	v_dot4_i32_iu8 v12, v12, v13, v17 neg_lo:[1,1,0]
	flat_store_b32 v[8:9], v12 offset:228
	flat_load_b32 v12, v[4:5] offset:28
	flat_load_b32 v13, v[6:7] offset:8
	;; [unrolled: 5-line block ×3, first 2 shown]
	s_waitcnt vmcnt(0) lgkmcnt(0)
	v_dot4_i32_iu8 v12, v12, v13, v19 neg_lo:[1,1,0]
	flat_store_b32 v[8:9], v12 offset:236
	flat_load_b32 v14, v[0:1] offset:48
	flat_load_b64 v[12:13], v[10:11]
	s_waitcnt vmcnt(1) lgkmcnt(1)
	v_ashrrev_i32_e32 v15, 31, v14
	s_waitcnt vmcnt(0) lgkmcnt(0)
	v_add_co_u32 v12, vcc_lo, v12, v14
	s_delay_alu instid0(VALU_DEP_2) | instskip(NEXT) | instid1(VALU_DEP_2)
	v_add_co_ci_u32_e32 v13, vcc_lo, v13, v15, vcc_lo
	v_add_co_u32 v12, vcc_lo, 0x1000, v12
	s_delay_alu instid0(VALU_DEP_2)
	v_add_co_ci_u32_e32 v13, vcc_lo, 0, v13, vcc_lo
	flat_load_b128 v[12:15], v[12:13] offset:3072
	flat_load_b32 v20, v[6:7] offset:16
	s_waitcnt vmcnt(1) lgkmcnt(1)
	flat_store_b128 v[6:7], v[12:15]
	flat_load_b32 v21, v[4:5] offset:16
	s_clause 0x1
	flat_load_b128 v[12:15], v[8:9] offset:144
	flat_load_b128 v[16:19], v[8:9] offset:176
	s_waitcnt vmcnt(1) lgkmcnt(1)
	v_dot4_i32_iu8 v12, v21, v20, v12 neg_lo:[1,1,0]
	flat_store_b32 v[8:9], v12 offset:144
	flat_load_b32 v12, v[4:5] offset:16
	flat_load_b32 v20, v[6:7] offset:20
	s_waitcnt vmcnt(0) lgkmcnt(0)
	v_dot4_i32_iu8 v12, v12, v20, v13 neg_lo:[1,1,0]
	flat_store_b32 v[8:9], v12 offset:148
	flat_load_b32 v12, v[4:5] offset:16
	flat_load_b32 v13, v[6:7] offset:24
	;; [unrolled: 5-line block ×8, first 2 shown]
	s_clause 0x1
	flat_load_b128 v[12:15], v[8:9] offset:208
	flat_load_b128 v[16:19], v[8:9] offset:240
	s_waitcnt vmcnt(1) lgkmcnt(1)
	v_dot4_i32_iu8 v12, v20, v21, v12 neg_lo:[1,1,0]
	flat_store_b32 v[8:9], v12 offset:208
	flat_load_b32 v12, v[4:5] offset:24
	flat_load_b32 v20, v[6:7] offset:20
	s_waitcnt vmcnt(0) lgkmcnt(0)
	v_dot4_i32_iu8 v12, v12, v20, v13 neg_lo:[1,1,0]
	flat_store_b32 v[8:9], v12 offset:212
	flat_load_b32 v12, v[4:5] offset:24
	flat_load_b32 v13, v[6:7] offset:24
	;; [unrolled: 5-line block ×7, first 2 shown]
	s_waitcnt vmcnt(0) lgkmcnt(0)
	v_dot4_i32_iu8 v12, v12, v13, v19 neg_lo:[1,1,0]
	flat_store_b32 v[8:9], v12 offset:252
	flat_load_b32 v14, v[0:1] offset:48
	flat_load_b64 v[12:13], v[10:11]
	s_waitcnt vmcnt(1) lgkmcnt(1)
	v_ashrrev_i32_e32 v15, 31, v14
	s_waitcnt vmcnt(0) lgkmcnt(0)
	v_add_co_u32 v12, vcc_lo, v12, v14
	s_delay_alu instid0(VALU_DEP_2) | instskip(NEXT) | instid1(VALU_DEP_2)
	v_add_co_ci_u32_e32 v13, vcc_lo, v13, v15, vcc_lo
	v_add_co_u32 v12, vcc_lo, 0x1000, v12
	s_delay_alu instid0(VALU_DEP_2)
	v_add_co_ci_u32_e32 v13, vcc_lo, 0, v13, vcc_lo
	flat_load_b128 v[12:15], v[12:13] offset:3328
	s_waitcnt vmcnt(0) lgkmcnt(0)
	flat_store_b128 v[6:7], v[12:15] offset:16
	flat_load_b32 v14, v[0:1] offset:16
	flat_load_b64 v[12:13], v[2:3]
	s_waitcnt vmcnt(1) lgkmcnt(1)
	v_ashrrev_i32_e32 v15, 31, v14
	s_waitcnt vmcnt(0) lgkmcnt(0)
	v_add_co_u32 v12, vcc_lo, v12, v14
	s_delay_alu instid0(VALU_DEP_2) | instskip(NEXT) | instid1(VALU_DEP_2)
	v_add_co_ci_u32_e32 v13, vcc_lo, v13, v15, vcc_lo
	v_add_co_u32 v12, vcc_lo, 0x1000, v12
	s_delay_alu instid0(VALU_DEP_2)
	v_add_co_ci_u32_e32 v13, vcc_lo, 0, v13, vcc_lo
	flat_load_b128 v[12:15], v[12:13] offset:3328
	flat_load_b32 v20, v[4:5]
	s_waitcnt vmcnt(1) lgkmcnt(1)
	flat_store_b128 v[4:5], v[12:15] offset:16
	flat_load_b32 v21, v[6:7]
	s_clause 0x1
	flat_load_b128 v[12:15], v[8:9]
	flat_load_b128 v[16:19], v[8:9] offset:16
	s_waitcnt vmcnt(1) lgkmcnt(1)
	v_dot4_i32_iu8 v12, v20, v21, v12 neg_lo:[1,1,0]
	flat_store_b32 v[8:9], v12
	flat_load_b32 v12, v[4:5]
	flat_load_b32 v20, v[6:7] offset:4
	s_waitcnt vmcnt(0) lgkmcnt(0)
	v_dot4_i32_iu8 v12, v12, v20, v13 neg_lo:[1,1,0]
	flat_store_b32 v[8:9], v12 offset:4
	flat_load_b32 v12, v[4:5]
	flat_load_b32 v13, v[6:7] offset:8
	s_waitcnt vmcnt(0) lgkmcnt(0)
	v_dot4_i32_iu8 v12, v12, v13, v14 neg_lo:[1,1,0]
	flat_store_b32 v[8:9], v12 offset:8
	;; [unrolled: 5-line block ×3, first 2 shown]
	flat_load_b32 v24, v[4:5] offset:4
	flat_load_b32 v25, v[6:7]
	s_clause 0x1
	flat_load_b128 v[12:15], v[8:9] offset:32
	flat_load_b128 v[20:23], v[8:9] offset:48
	s_waitcnt vmcnt(1) lgkmcnt(1)
	v_dot4_i32_iu8 v12, v24, v25, v12 neg_lo:[1,1,0]
	flat_store_b32 v[8:9], v12 offset:32
	flat_load_b32 v12, v[4:5] offset:4
	flat_load_b32 v24, v[6:7] offset:4
	s_waitcnt vmcnt(0) lgkmcnt(0)
	v_dot4_i32_iu8 v12, v12, v24, v13 neg_lo:[1,1,0]
	flat_store_b32 v[8:9], v12 offset:36
	flat_load_b32 v12, v[4:5] offset:4
	flat_load_b32 v13, v[6:7] offset:8
	s_waitcnt vmcnt(0) lgkmcnt(0)
	v_dot4_i32_iu8 v12, v12, v13, v14 neg_lo:[1,1,0]
	flat_store_b32 v[8:9], v12 offset:40
	flat_load_b32 v12, v[4:5] offset:4
	flat_load_b32 v13, v[6:7] offset:12
	s_waitcnt vmcnt(0) lgkmcnt(0)
	v_dot4_i32_iu8 v12, v12, v13, v15 neg_lo:[1,1,0]
	flat_store_b32 v[8:9], v12 offset:44
	flat_load_b32 v28, v[4:5] offset:8
	flat_load_b32 v29, v[6:7]
	s_clause 0x1
	flat_load_b128 v[12:15], v[8:9] offset:64
	flat_load_b128 v[24:27], v[8:9] offset:80
	s_waitcnt vmcnt(1) lgkmcnt(1)
	v_dot4_i32_iu8 v12, v28, v29, v12 neg_lo:[1,1,0]
	flat_store_b32 v[8:9], v12 offset:64
	flat_load_b32 v12, v[4:5] offset:8
	flat_load_b32 v28, v[6:7] offset:4
	s_waitcnt vmcnt(0) lgkmcnt(0)
	v_dot4_i32_iu8 v12, v12, v28, v13 neg_lo:[1,1,0]
	flat_store_b32 v[8:9], v12 offset:68
	flat_load_b32 v12, v[4:5] offset:8
	flat_load_b32 v13, v[6:7] offset:8
	s_waitcnt vmcnt(0) lgkmcnt(0)
	v_dot4_i32_iu8 v12, v12, v13, v14 neg_lo:[1,1,0]
	flat_store_b32 v[8:9], v12 offset:72
	flat_load_b32 v12, v[4:5] offset:8
	flat_load_b32 v13, v[6:7] offset:12
	s_waitcnt vmcnt(0) lgkmcnt(0)
	v_dot4_i32_iu8 v12, v12, v13, v15 neg_lo:[1,1,0]
	flat_store_b32 v[8:9], v12 offset:76
	flat_load_b32 v32, v[4:5] offset:12
	flat_load_b32 v33, v[6:7]
	s_clause 0x1
	flat_load_b128 v[12:15], v[8:9] offset:96
	flat_load_b128 v[28:31], v[8:9] offset:112
	s_waitcnt vmcnt(1) lgkmcnt(1)
	v_dot4_i32_iu8 v12, v32, v33, v12 neg_lo:[1,1,0]
	flat_store_b32 v[8:9], v12 offset:96
	flat_load_b32 v12, v[4:5] offset:12
	flat_load_b32 v32, v[6:7] offset:4
	s_waitcnt vmcnt(0) lgkmcnt(0)
	v_dot4_i32_iu8 v12, v12, v32, v13 neg_lo:[1,1,0]
	flat_store_b32 v[8:9], v12 offset:100
	flat_load_b32 v12, v[4:5] offset:12
	flat_load_b32 v13, v[6:7] offset:8
	s_waitcnt vmcnt(0) lgkmcnt(0)
	v_dot4_i32_iu8 v12, v12, v13, v14 neg_lo:[1,1,0]
	flat_store_b32 v[8:9], v12 offset:104
	flat_load_b32 v12, v[4:5] offset:12
	flat_load_b32 v13, v[6:7] offset:12
	s_waitcnt vmcnt(0) lgkmcnt(0)
	v_dot4_i32_iu8 v12, v12, v13, v15 neg_lo:[1,1,0]
	flat_store_b32 v[8:9], v12 offset:108
	flat_load_b32 v12, v[4:5]
	flat_load_b32 v13, v[6:7] offset:16
	s_waitcnt vmcnt(0) lgkmcnt(0)
	v_dot4_i32_iu8 v12, v12, v13, v16 neg_lo:[1,1,0]
	flat_store_b32 v[8:9], v12 offset:16
	flat_load_b32 v12, v[4:5]
	flat_load_b32 v13, v[6:7] offset:20
	s_waitcnt vmcnt(0) lgkmcnt(0)
	v_dot4_i32_iu8 v12, v12, v13, v17 neg_lo:[1,1,0]
	flat_store_b32 v[8:9], v12 offset:20
	;; [unrolled: 5-line block ×4, first 2 shown]
	flat_load_b32 v12, v[4:5] offset:4
	flat_load_b32 v13, v[6:7] offset:16
	s_waitcnt vmcnt(0) lgkmcnt(0)
	v_dot4_i32_iu8 v12, v12, v13, v20 neg_lo:[1,1,0]
	flat_store_b32 v[8:9], v12 offset:48
	flat_load_b32 v12, v[4:5] offset:4
	flat_load_b32 v13, v[6:7] offset:20
	s_waitcnt vmcnt(0) lgkmcnt(0)
	v_dot4_i32_iu8 v12, v12, v13, v21 neg_lo:[1,1,0]
	flat_store_b32 v[8:9], v12 offset:52
	;; [unrolled: 5-line block ×12, first 2 shown]
	flat_load_b32 v14, v[0:1] offset:16
	flat_load_b64 v[12:13], v[2:3]
	s_waitcnt vmcnt(1) lgkmcnt(1)
	v_ashrrev_i32_e32 v15, 31, v14
	s_waitcnt vmcnt(0) lgkmcnt(0)
	v_add_co_u32 v12, vcc_lo, v12, v14
	s_delay_alu instid0(VALU_DEP_2) | instskip(NEXT) | instid1(VALU_DEP_2)
	v_add_co_ci_u32_e32 v13, vcc_lo, v13, v15, vcc_lo
	v_add_co_u32 v12, vcc_lo, 0x1000, v12
	s_delay_alu instid0(VALU_DEP_2)
	v_add_co_ci_u32_e32 v13, vcc_lo, 0, v13, vcc_lo
	flat_load_b128 v[12:15], v[12:13] offset:3584
	flat_load_b32 v20, v[4:5] offset:16
	s_waitcnt vmcnt(1) lgkmcnt(1)
	flat_store_b128 v[4:5], v[12:15]
	flat_load_b32 v21, v[6:7]
	s_clause 0x1
	flat_load_b128 v[12:15], v[8:9] offset:128
	flat_load_b128 v[16:19], v[8:9] offset:160
	s_waitcnt vmcnt(1) lgkmcnt(1)
	v_dot4_i32_iu8 v12, v20, v21, v12 neg_lo:[1,1,0]
	flat_store_b32 v[8:9], v12 offset:128
	flat_load_b32 v12, v[4:5] offset:16
	flat_load_b32 v20, v[6:7] offset:4
	s_waitcnt vmcnt(0) lgkmcnt(0)
	v_dot4_i32_iu8 v12, v12, v20, v13 neg_lo:[1,1,0]
	flat_store_b32 v[8:9], v12 offset:132
	flat_load_b32 v12, v[4:5] offset:16
	flat_load_b32 v13, v[6:7] offset:8
	;; [unrolled: 5-line block ×3, first 2 shown]
	s_waitcnt vmcnt(0) lgkmcnt(0)
	v_dot4_i32_iu8 v12, v12, v13, v15 neg_lo:[1,1,0]
	flat_store_b32 v[8:9], v12 offset:140
	flat_load_b32 v12, v[4:5] offset:20
	flat_load_b32 v13, v[6:7]
	s_waitcnt vmcnt(0) lgkmcnt(0)
	v_dot4_i32_iu8 v12, v12, v13, v16 neg_lo:[1,1,0]
	flat_store_b32 v[8:9], v12 offset:160
	flat_load_b32 v12, v[4:5] offset:20
	flat_load_b32 v13, v[6:7] offset:4
	s_waitcnt vmcnt(0) lgkmcnt(0)
	v_dot4_i32_iu8 v12, v12, v13, v17 neg_lo:[1,1,0]
	flat_store_b32 v[8:9], v12 offset:164
	flat_load_b32 v12, v[4:5] offset:20
	flat_load_b32 v13, v[6:7] offset:8
	;; [unrolled: 5-line block ×3, first 2 shown]
	s_waitcnt vmcnt(0) lgkmcnt(0)
	v_dot4_i32_iu8 v12, v12, v13, v19 neg_lo:[1,1,0]
	flat_store_b32 v[8:9], v12 offset:172
	flat_load_b32 v20, v[4:5] offset:24
	flat_load_b32 v21, v[6:7]
	s_clause 0x1
	flat_load_b128 v[12:15], v[8:9] offset:192
	flat_load_b128 v[16:19], v[8:9] offset:224
	s_waitcnt vmcnt(1) lgkmcnt(1)
	v_dot4_i32_iu8 v12, v20, v21, v12 neg_lo:[1,1,0]
	flat_store_b32 v[8:9], v12 offset:192
	flat_load_b32 v12, v[4:5] offset:24
	flat_load_b32 v20, v[6:7] offset:4
	s_waitcnt vmcnt(0) lgkmcnt(0)
	v_dot4_i32_iu8 v12, v12, v20, v13 neg_lo:[1,1,0]
	flat_store_b32 v[8:9], v12 offset:196
	flat_load_b32 v12, v[4:5] offset:24
	flat_load_b32 v13, v[6:7] offset:8
	;; [unrolled: 5-line block ×3, first 2 shown]
	s_waitcnt vmcnt(0) lgkmcnt(0)
	v_dot4_i32_iu8 v12, v12, v13, v15 neg_lo:[1,1,0]
	flat_store_b32 v[8:9], v12 offset:204
	flat_load_b32 v12, v[4:5] offset:28
	flat_load_b32 v13, v[6:7]
	s_waitcnt vmcnt(0) lgkmcnt(0)
	v_dot4_i32_iu8 v12, v12, v13, v16 neg_lo:[1,1,0]
	flat_store_b32 v[8:9], v12 offset:224
	flat_load_b32 v12, v[4:5] offset:28
	flat_load_b32 v13, v[6:7] offset:4
	s_waitcnt vmcnt(0) lgkmcnt(0)
	v_dot4_i32_iu8 v12, v12, v13, v17 neg_lo:[1,1,0]
	flat_store_b32 v[8:9], v12 offset:228
	flat_load_b32 v12, v[4:5] offset:28
	flat_load_b32 v13, v[6:7] offset:8
	s_waitcnt vmcnt(0) lgkmcnt(0)
	v_dot4_i32_iu8 v12, v12, v13, v18 neg_lo:[1,1,0]
	flat_store_b32 v[8:9], v12 offset:232
	flat_load_b32 v12, v[4:5] offset:28
	flat_load_b32 v13, v[6:7] offset:12
	s_waitcnt vmcnt(0) lgkmcnt(0)
	v_dot4_i32_iu8 v12, v12, v13, v19 neg_lo:[1,1,0]
	flat_store_b32 v[8:9], v12 offset:236
	flat_load_b32 v14, v[0:1] offset:48
	flat_load_b64 v[12:13], v[10:11]
	s_waitcnt vmcnt(1) lgkmcnt(1)
	v_ashrrev_i32_e32 v15, 31, v14
	s_waitcnt vmcnt(0) lgkmcnt(0)
	v_add_co_u32 v12, vcc_lo, v12, v14
	s_delay_alu instid0(VALU_DEP_2) | instskip(NEXT) | instid1(VALU_DEP_2)
	v_add_co_ci_u32_e32 v13, vcc_lo, v13, v15, vcc_lo
	v_add_co_u32 v12, vcc_lo, 0x1000, v12
	s_delay_alu instid0(VALU_DEP_2)
	v_add_co_ci_u32_e32 v13, vcc_lo, 0, v13, vcc_lo
	flat_load_b128 v[12:15], v[12:13] offset:3584
	flat_load_b32 v20, v[6:7] offset:16
	s_waitcnt vmcnt(1) lgkmcnt(1)
	flat_store_b128 v[6:7], v[12:15]
	flat_load_b32 v21, v[4:5] offset:16
	s_clause 0x1
	flat_load_b128 v[12:15], v[8:9] offset:144
	flat_load_b128 v[16:19], v[8:9] offset:176
	s_waitcnt vmcnt(1) lgkmcnt(1)
	v_dot4_i32_iu8 v12, v21, v20, v12 neg_lo:[1,1,0]
	flat_store_b32 v[8:9], v12 offset:144
	flat_load_b32 v12, v[4:5] offset:16
	flat_load_b32 v20, v[6:7] offset:20
	s_waitcnt vmcnt(0) lgkmcnt(0)
	v_dot4_i32_iu8 v12, v12, v20, v13 neg_lo:[1,1,0]
	flat_store_b32 v[8:9], v12 offset:148
	flat_load_b32 v12, v[4:5] offset:16
	flat_load_b32 v13, v[6:7] offset:24
	;; [unrolled: 5-line block ×8, first 2 shown]
	s_clause 0x1
	flat_load_b128 v[12:15], v[8:9] offset:208
	flat_load_b128 v[16:19], v[8:9] offset:240
	s_waitcnt vmcnt(1) lgkmcnt(1)
	v_dot4_i32_iu8 v12, v20, v21, v12 neg_lo:[1,1,0]
	flat_store_b32 v[8:9], v12 offset:208
	flat_load_b32 v12, v[4:5] offset:24
	flat_load_b32 v20, v[6:7] offset:20
	s_waitcnt vmcnt(0) lgkmcnt(0)
	v_dot4_i32_iu8 v12, v12, v20, v13 neg_lo:[1,1,0]
	flat_store_b32 v[8:9], v12 offset:212
	flat_load_b32 v12, v[4:5] offset:24
	flat_load_b32 v13, v[6:7] offset:24
	;; [unrolled: 5-line block ×7, first 2 shown]
	s_waitcnt vmcnt(0) lgkmcnt(0)
	v_dot4_i32_iu8 v12, v12, v13, v19 neg_lo:[1,1,0]
	flat_store_b32 v[8:9], v12 offset:252
	flat_load_b32 v12, v[0:1] offset:48
	flat_load_b64 v[10:11], v[10:11]
	s_waitcnt vmcnt(1) lgkmcnt(1)
	v_ashrrev_i32_e32 v13, 31, v12
	s_waitcnt vmcnt(0) lgkmcnt(0)
	v_add_co_u32 v10, vcc_lo, v10, v12
	s_delay_alu instid0(VALU_DEP_2) | instskip(NEXT) | instid1(VALU_DEP_2)
	v_add_co_ci_u32_e32 v11, vcc_lo, v11, v13, vcc_lo
	v_add_co_u32 v10, vcc_lo, 0x1000, v10
	s_delay_alu instid0(VALU_DEP_2)
	v_add_co_ci_u32_e32 v11, vcc_lo, 0, v11, vcc_lo
	flat_load_b128 v[10:13], v[10:11] offset:3840
	s_waitcnt vmcnt(0) lgkmcnt(0)
	flat_store_b128 v[6:7], v[10:13] offset:16
	flat_load_b32 v10, v[0:1] offset:16
	flat_load_b64 v[0:1], v[2:3]
	s_waitcnt vmcnt(1) lgkmcnt(1)
	v_ashrrev_i32_e32 v2, 31, v10
	s_waitcnt vmcnt(0) lgkmcnt(0)
	v_add_co_u32 v0, vcc_lo, v0, v10
	s_delay_alu instid0(VALU_DEP_2) | instskip(NEXT) | instid1(VALU_DEP_2)
	v_add_co_ci_u32_e32 v1, vcc_lo, v1, v2, vcc_lo
	v_add_co_u32 v0, vcc_lo, 0x1000, v0
	s_delay_alu instid0(VALU_DEP_2)
	v_add_co_ci_u32_e32 v1, vcc_lo, 0, v1, vcc_lo
	flat_load_b128 v[0:3], v[0:1] offset:3840
	flat_load_b32 v14, v[4:5]
	s_waitcnt vmcnt(1) lgkmcnt(1)
	flat_store_b128 v[4:5], v[0:3] offset:16
	flat_load_b32 v15, v[6:7]
	s_clause 0x1
	flat_load_b128 v[0:3], v[8:9]
	flat_load_b128 v[10:13], v[8:9] offset:16
	s_waitcnt vmcnt(1) lgkmcnt(1)
	v_dot4_i32_iu8 v0, v14, v15, v0 neg_lo:[1,1,0]
	flat_store_b32 v[8:9], v0
	flat_load_b32 v0, v[4:5]
	flat_load_b32 v14, v[6:7] offset:4
	s_waitcnt vmcnt(0) lgkmcnt(0)
	v_dot4_i32_iu8 v0, v0, v14, v1 neg_lo:[1,1,0]
	flat_store_b32 v[8:9], v0 offset:4
	flat_load_b32 v0, v[4:5]
	flat_load_b32 v1, v[6:7] offset:8
	s_waitcnt vmcnt(0) lgkmcnt(0)
	v_dot4_i32_iu8 v0, v0, v1, v2 neg_lo:[1,1,0]
	flat_store_b32 v[8:9], v0 offset:8
	;; [unrolled: 5-line block ×3, first 2 shown]
	flat_load_b32 v18, v[4:5] offset:4
	flat_load_b32 v19, v[6:7]
	s_clause 0x1
	flat_load_b128 v[0:3], v[8:9] offset:32
	flat_load_b128 v[14:17], v[8:9] offset:48
	s_waitcnt vmcnt(1) lgkmcnt(1)
	v_dot4_i32_iu8 v0, v18, v19, v0 neg_lo:[1,1,0]
	flat_store_b32 v[8:9], v0 offset:32
	flat_load_b32 v0, v[4:5] offset:4
	flat_load_b32 v18, v[6:7] offset:4
	s_waitcnt vmcnt(0) lgkmcnt(0)
	v_dot4_i32_iu8 v0, v0, v18, v1 neg_lo:[1,1,0]
	flat_store_b32 v[8:9], v0 offset:36
	flat_load_b32 v0, v[4:5] offset:4
	flat_load_b32 v1, v[6:7] offset:8
	s_waitcnt vmcnt(0) lgkmcnt(0)
	v_dot4_i32_iu8 v0, v0, v1, v2 neg_lo:[1,1,0]
	flat_store_b32 v[8:9], v0 offset:40
	flat_load_b32 v0, v[4:5] offset:4
	flat_load_b32 v1, v[6:7] offset:12
	s_waitcnt vmcnt(0) lgkmcnt(0)
	v_dot4_i32_iu8 v0, v0, v1, v3 neg_lo:[1,1,0]
	flat_store_b32 v[8:9], v0 offset:44
	flat_load_b32 v22, v[4:5] offset:8
	flat_load_b32 v23, v[6:7]
	s_clause 0x1
	flat_load_b128 v[0:3], v[8:9] offset:64
	flat_load_b128 v[18:21], v[8:9] offset:80
	s_waitcnt vmcnt(1) lgkmcnt(1)
	v_dot4_i32_iu8 v0, v22, v23, v0 neg_lo:[1,1,0]
	flat_store_b32 v[8:9], v0 offset:64
	flat_load_b32 v0, v[4:5] offset:8
	flat_load_b32 v22, v[6:7] offset:4
	s_waitcnt vmcnt(0) lgkmcnt(0)
	v_dot4_i32_iu8 v0, v0, v22, v1 neg_lo:[1,1,0]
	flat_store_b32 v[8:9], v0 offset:68
	flat_load_b32 v0, v[4:5] offset:8
	flat_load_b32 v1, v[6:7] offset:8
	s_waitcnt vmcnt(0) lgkmcnt(0)
	v_dot4_i32_iu8 v0, v0, v1, v2 neg_lo:[1,1,0]
	flat_store_b32 v[8:9], v0 offset:72
	flat_load_b32 v0, v[4:5] offset:8
	flat_load_b32 v1, v[6:7] offset:12
	s_waitcnt vmcnt(0) lgkmcnt(0)
	v_dot4_i32_iu8 v0, v0, v1, v3 neg_lo:[1,1,0]
	flat_store_b32 v[8:9], v0 offset:76
	;; [unrolled: 23-line block ×3, first 2 shown]
	flat_load_b32 v0, v[4:5]
	flat_load_b32 v1, v[6:7] offset:16
	s_waitcnt vmcnt(0) lgkmcnt(0)
	v_dot4_i32_iu8 v0, v0, v1, v10 neg_lo:[1,1,0]
	flat_store_b32 v[8:9], v0 offset:16
	flat_load_b32 v0, v[4:5]
	flat_load_b32 v1, v[6:7] offset:20
	s_waitcnt vmcnt(0) lgkmcnt(0)
	v_dot4_i32_iu8 v0, v0, v1, v11 neg_lo:[1,1,0]
	flat_store_b32 v[8:9], v0 offset:20
	;; [unrolled: 5-line block ×4, first 2 shown]
	flat_load_b32 v0, v[4:5] offset:4
	flat_load_b32 v1, v[6:7] offset:16
	s_waitcnt vmcnt(0) lgkmcnt(0)
	v_dot4_i32_iu8 v0, v0, v1, v14 neg_lo:[1,1,0]
	flat_store_b32 v[8:9], v0 offset:48
	flat_load_b32 v0, v[4:5] offset:4
	flat_load_b32 v1, v[6:7] offset:20
	s_waitcnt vmcnt(0) lgkmcnt(0)
	v_dot4_i32_iu8 v0, v0, v1, v15 neg_lo:[1,1,0]
	flat_store_b32 v[8:9], v0 offset:52
	;; [unrolled: 5-line block ×12, first 2 shown]
	s_waitcnt lgkmcnt(0)
	s_setpc_b64 s[30:31]
.Lfunc_end1:
	.size	_ZNK2ck6detail15static_for_implINS_8SequenceIJLi1ELi2ELi3ELi4ELi5ELi6ELi7ELi8ELi9ELi10ELi11ELi12ELi13ELi14ELi15EEEEEclIZNKS_80BlockwiseGemmDl_A_BK0_BM_BK1_B_BK0_BN_BK1_C_BM0_BM1_BN0_BN1_pipeline_BM0_2_BN0_2ILi256EaaiKNS_16TensorDescriptorINS_5TupleIJNS_5EmbedINS8_IJNS_17integral_constantIiLi16EEENSA_IiLi128EEENSA_IiLi4EEEEEENS8_IJNSA_IiLi512EEESD_NSA_IiLi1EEEEEELb0EEEEEENS8_IJNS2_IJLi0EEEEEEENS8_IJNS2_IJLi1ELi2ELi3EEEEEEESM_NSA_IlLl8192EEEEESQ_Li4ELi4ELi1ENS2_IJLi8ELi2EEEESR_Li4ELi4ELb0EE3RunINS7_INS8_IJNS_7UnMergeINS8_IJNSA_IiLi2EEESD_SV_SD_EEELb0EEEEEESL_NS8_IJNS2_IJLi1ELi2ELi3ELi4EEEEEEESZ_NSA_IlLl64EEEEENS_13DynamicBufferILNS_16AddressSpaceEnumE2EaSO_Lb1ELNS_22AmdBufferCoherenceEnumE0EiEES16_NS_12StaticBufferILS14_4EiLi64ELb1EEEEEvRKT_RKT0_RKT1_RT2_EUlS19_E_EEvS19_, .Lfunc_end1-_ZNK2ck6detail15static_for_implINS_8SequenceIJLi1ELi2ELi3ELi4ELi5ELi6ELi7ELi8ELi9ELi10ELi11ELi12ELi13ELi14ELi15EEEEEclIZNKS_80BlockwiseGemmDl_A_BK0_BM_BK1_B_BK0_BN_BK1_C_BM0_BM1_BN0_BN1_pipeline_BM0_2_BN0_2ILi256EaaiKNS_16TensorDescriptorINS_5TupleIJNS_5EmbedINS8_IJNS_17integral_constantIiLi16EEENSA_IiLi128EEENSA_IiLi4EEEEEENS8_IJNSA_IiLi512EEESD_NSA_IiLi1EEEEEELb0EEEEEENS8_IJNS2_IJLi0EEEEEEENS8_IJNS2_IJLi1ELi2ELi3EEEEEEESM_NSA_IlLl8192EEEEESQ_Li4ELi4ELi1ENS2_IJLi8ELi2EEEESR_Li4ELi4ELb0EE3RunINS7_INS8_IJNS_7UnMergeINS8_IJNSA_IiLi2EEESD_SV_SD_EEELb0EEEEEESL_NS8_IJNS2_IJLi1ELi2ELi3ELi4EEEEEEESZ_NSA_IlLl64EEEEENS_13DynamicBufferILNS_16AddressSpaceEnumE2EaSO_Lb1ELNS_22AmdBufferCoherenceEnumE0EiEES16_NS_12StaticBufferILS14_4EiLi64ELb1EEEEEvRKT_RKT0_RKT1_RT2_EUlS19_E_EEvS19_
                                        ; -- End function
	.section	.AMDGPU.csdata,"",@progbits
; Function info:
; codeLenInByte = 41420
; NumSgprs: 34
; NumVgprs: 34
; ScratchSize: 0
; MemoryBound: 0
	.section	.text._ZN2ck19kernel_gemm_dl_v1r3INS_28GridwiseGemmDl_km_kn_mn_v1r3ILi256EaiaLNS_25InMemoryDataOperationEnumE0ENS_16TensorDescriptorINS_5TupleIJNS_5EmbedINS4_IJiiEEENS4_IJNS_17integral_constantIiLi1EEEiEEELb0EEENS_7UnMergeINS4_IJiNS7_IiLi4EEEEEELb0EEENS_11PassThroughIiEEEEENS4_IJNS_8SequenceIJLi0EEEENSI_IJLi2EEEENSI_IJLi1EEEEEEENS4_IJNSI_IJLi1ELi2EEEENSI_IJLi3ELi4EEEENSI_IJLi5EEEEEEENSI_IJLi3ELi5ELi4EEEElEENS3_INS4_IJNS5_IS6_NS4_IJiS8_EEELb0EEESE_SG_EEENS4_IJSJ_SL_SK_EEESQ_SR_lEENS3_INS4_IJSU_SG_SG_EEESW_NS4_IJSN_NSI_IJLi3EEEENSI_IJLi4EEEEEEESO_lEELi128ELi128ELi16ELi4ELi4ELi4ELi1ENSI_IJLi8ELi2EEEES13_NSI_IJLi2ELi1ELi4ELi4EEEENSI_IJLi8ELi1ELi32ELi1EEEENSI_IJLi0ELi3ELi1ELi2EEEES16_NSI_IJLi1ELi1ELi4ELi1EEEES16_NSI_IJLi1ELi1ELi4ELi4EEEES14_S15_S16_S16_S17_S16_S18_NSI_IJLi0ELi1ELi2ELi3ELi4ELi5EEEELi5ELi4EEEaaNS3_INS4_IJSA_SE_SG_SG_NSB_INS4_IJiNS7_IiLi128EEEEEELb0EEENSF_ISC_EEEEENS4_IJSJ_SK_SL_SZ_SP_S10_EEENS4_IJSN_SO_SP_NSI_IJLi6EEEENSI_IJLi7ELi8EEEENSI_IJLi9EEEEEEENSI_IJLi6ELi7ELi8ELi9EEEElEENS3_INS4_IJSU_SE_SG_SG_S1D_S1E_EEENS4_IJSJ_SL_SK_SZ_SP_S10_EEES1K_S1L_lEENS3_INS4_IJSU_SG_SG_NSB_INS4_IJiNS7_IiLi2EEENS7_IiLi64EEEEEELb0EEES1T_EEENS4_IJSJ_SL_SK_SZ_S10_EEENS4_IJSN_SZ_S10_NSI_IJLi5ELi6ELi7EEEENSI_IJLi8ELi9ELi10EEEEEEENSI_IJLi5ELi6ELi7ELi8ELi9ELi10EEEElEENS_31BlockToCTileMap_M00_N00_M01_N01ILi128ELi128ES12_Lb0EEELb1ELb1EEEvPKT0_S25_PT1_T2_T3_T4_T5_,"axG",@progbits,_ZN2ck19kernel_gemm_dl_v1r3INS_28GridwiseGemmDl_km_kn_mn_v1r3ILi256EaiaLNS_25InMemoryDataOperationEnumE0ENS_16TensorDescriptorINS_5TupleIJNS_5EmbedINS4_IJiiEEENS4_IJNS_17integral_constantIiLi1EEEiEEELb0EEENS_7UnMergeINS4_IJiNS7_IiLi4EEEEEELb0EEENS_11PassThroughIiEEEEENS4_IJNS_8SequenceIJLi0EEEENSI_IJLi2EEEENSI_IJLi1EEEEEEENS4_IJNSI_IJLi1ELi2EEEENSI_IJLi3ELi4EEEENSI_IJLi5EEEEEEENSI_IJLi3ELi5ELi4EEEElEENS3_INS4_IJNS5_IS6_NS4_IJiS8_EEELb0EEESE_SG_EEENS4_IJSJ_SL_SK_EEESQ_SR_lEENS3_INS4_IJSU_SG_SG_EEESW_NS4_IJSN_NSI_IJLi3EEEENSI_IJLi4EEEEEEESO_lEELi128ELi128ELi16ELi4ELi4ELi4ELi1ENSI_IJLi8ELi2EEEES13_NSI_IJLi2ELi1ELi4ELi4EEEENSI_IJLi8ELi1ELi32ELi1EEEENSI_IJLi0ELi3ELi1ELi2EEEES16_NSI_IJLi1ELi1ELi4ELi1EEEES16_NSI_IJLi1ELi1ELi4ELi4EEEES14_S15_S16_S16_S17_S16_S18_NSI_IJLi0ELi1ELi2ELi3ELi4ELi5EEEELi5ELi4EEEaaNS3_INS4_IJSA_SE_SG_SG_NSB_INS4_IJiNS7_IiLi128EEEEEELb0EEENSF_ISC_EEEEENS4_IJSJ_SK_SL_SZ_SP_S10_EEENS4_IJSN_SO_SP_NSI_IJLi6EEEENSI_IJLi7ELi8EEEENSI_IJLi9EEEEEEENSI_IJLi6ELi7ELi8ELi9EEEElEENS3_INS4_IJSU_SE_SG_SG_S1D_S1E_EEENS4_IJSJ_SL_SK_SZ_SP_S10_EEES1K_S1L_lEENS3_INS4_IJSU_SG_SG_NSB_INS4_IJiNS7_IiLi2EEENS7_IiLi64EEEEEELb0EEES1T_EEENS4_IJSJ_SL_SK_SZ_S10_EEENS4_IJSN_SZ_S10_NSI_IJLi5ELi6ELi7EEEENSI_IJLi8ELi9ELi10EEEEEEENSI_IJLi5ELi6ELi7ELi8ELi9ELi10EEEElEENS_31BlockToCTileMap_M00_N00_M01_N01ILi128ELi128ES12_Lb0EEELb1ELb1EEEvPKT0_S25_PT1_T2_T3_T4_T5_,comdat
	.protected	_ZN2ck19kernel_gemm_dl_v1r3INS_28GridwiseGemmDl_km_kn_mn_v1r3ILi256EaiaLNS_25InMemoryDataOperationEnumE0ENS_16TensorDescriptorINS_5TupleIJNS_5EmbedINS4_IJiiEEENS4_IJNS_17integral_constantIiLi1EEEiEEELb0EEENS_7UnMergeINS4_IJiNS7_IiLi4EEEEEELb0EEENS_11PassThroughIiEEEEENS4_IJNS_8SequenceIJLi0EEEENSI_IJLi2EEEENSI_IJLi1EEEEEEENS4_IJNSI_IJLi1ELi2EEEENSI_IJLi3ELi4EEEENSI_IJLi5EEEEEEENSI_IJLi3ELi5ELi4EEEElEENS3_INS4_IJNS5_IS6_NS4_IJiS8_EEELb0EEESE_SG_EEENS4_IJSJ_SL_SK_EEESQ_SR_lEENS3_INS4_IJSU_SG_SG_EEESW_NS4_IJSN_NSI_IJLi3EEEENSI_IJLi4EEEEEEESO_lEELi128ELi128ELi16ELi4ELi4ELi4ELi1ENSI_IJLi8ELi2EEEES13_NSI_IJLi2ELi1ELi4ELi4EEEENSI_IJLi8ELi1ELi32ELi1EEEENSI_IJLi0ELi3ELi1ELi2EEEES16_NSI_IJLi1ELi1ELi4ELi1EEEES16_NSI_IJLi1ELi1ELi4ELi4EEEES14_S15_S16_S16_S17_S16_S18_NSI_IJLi0ELi1ELi2ELi3ELi4ELi5EEEELi5ELi4EEEaaNS3_INS4_IJSA_SE_SG_SG_NSB_INS4_IJiNS7_IiLi128EEEEEELb0EEENSF_ISC_EEEEENS4_IJSJ_SK_SL_SZ_SP_S10_EEENS4_IJSN_SO_SP_NSI_IJLi6EEEENSI_IJLi7ELi8EEEENSI_IJLi9EEEEEEENSI_IJLi6ELi7ELi8ELi9EEEElEENS3_INS4_IJSU_SE_SG_SG_S1D_S1E_EEENS4_IJSJ_SL_SK_SZ_SP_S10_EEES1K_S1L_lEENS3_INS4_IJSU_SG_SG_NSB_INS4_IJiNS7_IiLi2EEENS7_IiLi64EEEEEELb0EEES1T_EEENS4_IJSJ_SL_SK_SZ_S10_EEENS4_IJSN_SZ_S10_NSI_IJLi5ELi6ELi7EEEENSI_IJLi8ELi9ELi10EEEEEEENSI_IJLi5ELi6ELi7ELi8ELi9ELi10EEEElEENS_31BlockToCTileMap_M00_N00_M01_N01ILi128ELi128ES12_Lb0EEELb1ELb1EEEvPKT0_S25_PT1_T2_T3_T4_T5_ ; -- Begin function _ZN2ck19kernel_gemm_dl_v1r3INS_28GridwiseGemmDl_km_kn_mn_v1r3ILi256EaiaLNS_25InMemoryDataOperationEnumE0ENS_16TensorDescriptorINS_5TupleIJNS_5EmbedINS4_IJiiEEENS4_IJNS_17integral_constantIiLi1EEEiEEELb0EEENS_7UnMergeINS4_IJiNS7_IiLi4EEEEEELb0EEENS_11PassThroughIiEEEEENS4_IJNS_8SequenceIJLi0EEEENSI_IJLi2EEEENSI_IJLi1EEEEEEENS4_IJNSI_IJLi1ELi2EEEENSI_IJLi3ELi4EEEENSI_IJLi5EEEEEEENSI_IJLi3ELi5ELi4EEEElEENS3_INS4_IJNS5_IS6_NS4_IJiS8_EEELb0EEESE_SG_EEENS4_IJSJ_SL_SK_EEESQ_SR_lEENS3_INS4_IJSU_SG_SG_EEESW_NS4_IJSN_NSI_IJLi3EEEENSI_IJLi4EEEEEEESO_lEELi128ELi128ELi16ELi4ELi4ELi4ELi1ENSI_IJLi8ELi2EEEES13_NSI_IJLi2ELi1ELi4ELi4EEEENSI_IJLi8ELi1ELi32ELi1EEEENSI_IJLi0ELi3ELi1ELi2EEEES16_NSI_IJLi1ELi1ELi4ELi1EEEES16_NSI_IJLi1ELi1ELi4ELi4EEEES14_S15_S16_S16_S17_S16_S18_NSI_IJLi0ELi1ELi2ELi3ELi4ELi5EEEELi5ELi4EEEaaNS3_INS4_IJSA_SE_SG_SG_NSB_INS4_IJiNS7_IiLi128EEEEEELb0EEENSF_ISC_EEEEENS4_IJSJ_SK_SL_SZ_SP_S10_EEENS4_IJSN_SO_SP_NSI_IJLi6EEEENSI_IJLi7ELi8EEEENSI_IJLi9EEEEEEENSI_IJLi6ELi7ELi8ELi9EEEElEENS3_INS4_IJSU_SE_SG_SG_S1D_S1E_EEENS4_IJSJ_SL_SK_SZ_SP_S10_EEES1K_S1L_lEENS3_INS4_IJSU_SG_SG_NSB_INS4_IJiNS7_IiLi2EEENS7_IiLi64EEEEEELb0EEES1T_EEENS4_IJSJ_SL_SK_SZ_S10_EEENS4_IJSN_SZ_S10_NSI_IJLi5ELi6ELi7EEEENSI_IJLi8ELi9ELi10EEEEEEENSI_IJLi5ELi6ELi7ELi8ELi9ELi10EEEElEENS_31BlockToCTileMap_M00_N00_M01_N01ILi128ELi128ES12_Lb0EEELb1ELb1EEEvPKT0_S25_PT1_T2_T3_T4_T5_
	.globl	_ZN2ck19kernel_gemm_dl_v1r3INS_28GridwiseGemmDl_km_kn_mn_v1r3ILi256EaiaLNS_25InMemoryDataOperationEnumE0ENS_16TensorDescriptorINS_5TupleIJNS_5EmbedINS4_IJiiEEENS4_IJNS_17integral_constantIiLi1EEEiEEELb0EEENS_7UnMergeINS4_IJiNS7_IiLi4EEEEEELb0EEENS_11PassThroughIiEEEEENS4_IJNS_8SequenceIJLi0EEEENSI_IJLi2EEEENSI_IJLi1EEEEEEENS4_IJNSI_IJLi1ELi2EEEENSI_IJLi3ELi4EEEENSI_IJLi5EEEEEEENSI_IJLi3ELi5ELi4EEEElEENS3_INS4_IJNS5_IS6_NS4_IJiS8_EEELb0EEESE_SG_EEENS4_IJSJ_SL_SK_EEESQ_SR_lEENS3_INS4_IJSU_SG_SG_EEESW_NS4_IJSN_NSI_IJLi3EEEENSI_IJLi4EEEEEEESO_lEELi128ELi128ELi16ELi4ELi4ELi4ELi1ENSI_IJLi8ELi2EEEES13_NSI_IJLi2ELi1ELi4ELi4EEEENSI_IJLi8ELi1ELi32ELi1EEEENSI_IJLi0ELi3ELi1ELi2EEEES16_NSI_IJLi1ELi1ELi4ELi1EEEES16_NSI_IJLi1ELi1ELi4ELi4EEEES14_S15_S16_S16_S17_S16_S18_NSI_IJLi0ELi1ELi2ELi3ELi4ELi5EEEELi5ELi4EEEaaNS3_INS4_IJSA_SE_SG_SG_NSB_INS4_IJiNS7_IiLi128EEEEEELb0EEENSF_ISC_EEEEENS4_IJSJ_SK_SL_SZ_SP_S10_EEENS4_IJSN_SO_SP_NSI_IJLi6EEEENSI_IJLi7ELi8EEEENSI_IJLi9EEEEEEENSI_IJLi6ELi7ELi8ELi9EEEElEENS3_INS4_IJSU_SE_SG_SG_S1D_S1E_EEENS4_IJSJ_SL_SK_SZ_SP_S10_EEES1K_S1L_lEENS3_INS4_IJSU_SG_SG_NSB_INS4_IJiNS7_IiLi2EEENS7_IiLi64EEEEEELb0EEES1T_EEENS4_IJSJ_SL_SK_SZ_S10_EEENS4_IJSN_SZ_S10_NSI_IJLi5ELi6ELi7EEEENSI_IJLi8ELi9ELi10EEEEEEENSI_IJLi5ELi6ELi7ELi8ELi9ELi10EEEElEENS_31BlockToCTileMap_M00_N00_M01_N01ILi128ELi128ES12_Lb0EEELb1ELb1EEEvPKT0_S25_PT1_T2_T3_T4_T5_
	.p2align	8
	.type	_ZN2ck19kernel_gemm_dl_v1r3INS_28GridwiseGemmDl_km_kn_mn_v1r3ILi256EaiaLNS_25InMemoryDataOperationEnumE0ENS_16TensorDescriptorINS_5TupleIJNS_5EmbedINS4_IJiiEEENS4_IJNS_17integral_constantIiLi1EEEiEEELb0EEENS_7UnMergeINS4_IJiNS7_IiLi4EEEEEELb0EEENS_11PassThroughIiEEEEENS4_IJNS_8SequenceIJLi0EEEENSI_IJLi2EEEENSI_IJLi1EEEEEEENS4_IJNSI_IJLi1ELi2EEEENSI_IJLi3ELi4EEEENSI_IJLi5EEEEEEENSI_IJLi3ELi5ELi4EEEElEENS3_INS4_IJNS5_IS6_NS4_IJiS8_EEELb0EEESE_SG_EEENS4_IJSJ_SL_SK_EEESQ_SR_lEENS3_INS4_IJSU_SG_SG_EEESW_NS4_IJSN_NSI_IJLi3EEEENSI_IJLi4EEEEEEESO_lEELi128ELi128ELi16ELi4ELi4ELi4ELi1ENSI_IJLi8ELi2EEEES13_NSI_IJLi2ELi1ELi4ELi4EEEENSI_IJLi8ELi1ELi32ELi1EEEENSI_IJLi0ELi3ELi1ELi2EEEES16_NSI_IJLi1ELi1ELi4ELi1EEEES16_NSI_IJLi1ELi1ELi4ELi4EEEES14_S15_S16_S16_S17_S16_S18_NSI_IJLi0ELi1ELi2ELi3ELi4ELi5EEEELi5ELi4EEEaaNS3_INS4_IJSA_SE_SG_SG_NSB_INS4_IJiNS7_IiLi128EEEEEELb0EEENSF_ISC_EEEEENS4_IJSJ_SK_SL_SZ_SP_S10_EEENS4_IJSN_SO_SP_NSI_IJLi6EEEENSI_IJLi7ELi8EEEENSI_IJLi9EEEEEEENSI_IJLi6ELi7ELi8ELi9EEEElEENS3_INS4_IJSU_SE_SG_SG_S1D_S1E_EEENS4_IJSJ_SL_SK_SZ_SP_S10_EEES1K_S1L_lEENS3_INS4_IJSU_SG_SG_NSB_INS4_IJiNS7_IiLi2EEENS7_IiLi64EEEEEELb0EEES1T_EEENS4_IJSJ_SL_SK_SZ_S10_EEENS4_IJSN_SZ_S10_NSI_IJLi5ELi6ELi7EEEENSI_IJLi8ELi9ELi10EEEEEEENSI_IJLi5ELi6ELi7ELi8ELi9ELi10EEEElEENS_31BlockToCTileMap_M00_N00_M01_N01ILi128ELi128ES12_Lb0EEELb1ELb1EEEvPKT0_S25_PT1_T2_T3_T4_T5_,@function
_ZN2ck19kernel_gemm_dl_v1r3INS_28GridwiseGemmDl_km_kn_mn_v1r3ILi256EaiaLNS_25InMemoryDataOperationEnumE0ENS_16TensorDescriptorINS_5TupleIJNS_5EmbedINS4_IJiiEEENS4_IJNS_17integral_constantIiLi1EEEiEEELb0EEENS_7UnMergeINS4_IJiNS7_IiLi4EEEEEELb0EEENS_11PassThroughIiEEEEENS4_IJNS_8SequenceIJLi0EEEENSI_IJLi2EEEENSI_IJLi1EEEEEEENS4_IJNSI_IJLi1ELi2EEEENSI_IJLi3ELi4EEEENSI_IJLi5EEEEEEENSI_IJLi3ELi5ELi4EEEElEENS3_INS4_IJNS5_IS6_NS4_IJiS8_EEELb0EEESE_SG_EEENS4_IJSJ_SL_SK_EEESQ_SR_lEENS3_INS4_IJSU_SG_SG_EEESW_NS4_IJSN_NSI_IJLi3EEEENSI_IJLi4EEEEEEESO_lEELi128ELi128ELi16ELi4ELi4ELi4ELi1ENSI_IJLi8ELi2EEEES13_NSI_IJLi2ELi1ELi4ELi4EEEENSI_IJLi8ELi1ELi32ELi1EEEENSI_IJLi0ELi3ELi1ELi2EEEES16_NSI_IJLi1ELi1ELi4ELi1EEEES16_NSI_IJLi1ELi1ELi4ELi4EEEES14_S15_S16_S16_S17_S16_S18_NSI_IJLi0ELi1ELi2ELi3ELi4ELi5EEEELi5ELi4EEEaaNS3_INS4_IJSA_SE_SG_SG_NSB_INS4_IJiNS7_IiLi128EEEEEELb0EEENSF_ISC_EEEEENS4_IJSJ_SK_SL_SZ_SP_S10_EEENS4_IJSN_SO_SP_NSI_IJLi6EEEENSI_IJLi7ELi8EEEENSI_IJLi9EEEEEEENSI_IJLi6ELi7ELi8ELi9EEEElEENS3_INS4_IJSU_SE_SG_SG_S1D_S1E_EEENS4_IJSJ_SL_SK_SZ_SP_S10_EEES1K_S1L_lEENS3_INS4_IJSU_SG_SG_NSB_INS4_IJiNS7_IiLi2EEENS7_IiLi64EEEEEELb0EEES1T_EEENS4_IJSJ_SL_SK_SZ_S10_EEENS4_IJSN_SZ_S10_NSI_IJLi5ELi6ELi7EEEENSI_IJLi8ELi9ELi10EEEEEEENSI_IJLi5ELi6ELi7ELi8ELi9ELi10EEEElEENS_31BlockToCTileMap_M00_N00_M01_N01ILi128ELi128ES12_Lb0EEELb1ELb1EEEvPKT0_S25_PT1_T2_T3_T4_T5_: ; @_ZN2ck19kernel_gemm_dl_v1r3INS_28GridwiseGemmDl_km_kn_mn_v1r3ILi256EaiaLNS_25InMemoryDataOperationEnumE0ENS_16TensorDescriptorINS_5TupleIJNS_5EmbedINS4_IJiiEEENS4_IJNS_17integral_constantIiLi1EEEiEEELb0EEENS_7UnMergeINS4_IJiNS7_IiLi4EEEEEELb0EEENS_11PassThroughIiEEEEENS4_IJNS_8SequenceIJLi0EEEENSI_IJLi2EEEENSI_IJLi1EEEEEEENS4_IJNSI_IJLi1ELi2EEEENSI_IJLi3ELi4EEEENSI_IJLi5EEEEEEENSI_IJLi3ELi5ELi4EEEElEENS3_INS4_IJNS5_IS6_NS4_IJiS8_EEELb0EEESE_SG_EEENS4_IJSJ_SL_SK_EEESQ_SR_lEENS3_INS4_IJSU_SG_SG_EEESW_NS4_IJSN_NSI_IJLi3EEEENSI_IJLi4EEEEEEESO_lEELi128ELi128ELi16ELi4ELi4ELi4ELi1ENSI_IJLi8ELi2EEEES13_NSI_IJLi2ELi1ELi4ELi4EEEENSI_IJLi8ELi1ELi32ELi1EEEENSI_IJLi0ELi3ELi1ELi2EEEES16_NSI_IJLi1ELi1ELi4ELi1EEEES16_NSI_IJLi1ELi1ELi4ELi4EEEES14_S15_S16_S16_S17_S16_S18_NSI_IJLi0ELi1ELi2ELi3ELi4ELi5EEEELi5ELi4EEEaaNS3_INS4_IJSA_SE_SG_SG_NSB_INS4_IJiNS7_IiLi128EEEEEELb0EEENSF_ISC_EEEEENS4_IJSJ_SK_SL_SZ_SP_S10_EEENS4_IJSN_SO_SP_NSI_IJLi6EEEENSI_IJLi7ELi8EEEENSI_IJLi9EEEEEEENSI_IJLi6ELi7ELi8ELi9EEEElEENS3_INS4_IJSU_SE_SG_SG_S1D_S1E_EEENS4_IJSJ_SL_SK_SZ_SP_S10_EEES1K_S1L_lEENS3_INS4_IJSU_SG_SG_NSB_INS4_IJiNS7_IiLi2EEENS7_IiLi64EEEEEELb0EEES1T_EEENS4_IJSJ_SL_SK_SZ_S10_EEENS4_IJSN_SZ_S10_NSI_IJLi5ELi6ELi7EEEENSI_IJLi8ELi9ELi10EEEEEEENSI_IJLi5ELi6ELi7ELi8ELi9ELi10EEEElEENS_31BlockToCTileMap_M00_N00_M01_N01ILi128ELi128ES12_Lb0EEELb1ELb1EEEvPKT0_S25_PT1_T2_T3_T4_T5_
; %bb.0:
	s_clause 0xb
	s_load_b128 s[24:27], s[0:1], 0x11c
	s_load_b128 s[16:19], s[0:1], 0x0
	s_load_b64 s[4:5], s[0:1], 0x10
	s_load_b128 s[20:23], s[0:1], 0x130
	s_load_b32 s29, s[0:1], 0x24
	s_load_b32 s30, s[0:1], 0x38
	;; [unrolled: 1-line block ×6, first 2 shown]
	s_load_b64 s[6:7], s[0:1], 0xd0
	s_load_b32 s3, s[0:1], 0xec
	s_waitcnt lgkmcnt(0)
	s_clause 0x1
	s_load_b32 s7, s[0:1], 0xfc
	s_load_b128 s[36:39], s[0:1], 0x108
	v_lshrrev_b32_e32 v1, 4, v0
	v_lshrrev_b32_e32 v3, 5, v0
	s_movk_i32 s32, 0x1e0
	v_mov_b32_e32 v34, 0
	v_lshlrev_b32_e32 v2, 2, v0
	v_lshlrev_b32_e32 v0, 1, v0
	v_and_b32_e32 v19, 14, v1
	s_mul_hi_u32 s0, s27, s15
	v_dual_mov_b32 v36, v34 :: v_dual_lshlrev_b32 v1, 6, v3
	s_add_i32 s0, s15, s0
	v_dual_mov_b32 v7, v34 :: v_dual_and_b32 v4, 0x1f8, v0
	s_lshr_b32 s0, s0, s23
	v_dual_mov_b32 v9, v34 :: v_dual_and_b32 v0, 0x1fc, v0
	s_mul_hi_u32 s1, s0, s26
	v_dual_mov_b32 v5, v34 :: v_dual_and_b32 v84, 0x7c, v2
	s_add_i32 s1, s0, s1
	s_waitcnt lgkmcnt(0)
	s_mul_i32 s9, s0, s39
	s_lshr_b32 s1, s1, s22
	s_sub_i32 s9, s15, s9
	s_mul_hi_u32 s8, s1, s25
	s_mul_i32 s12, s1, s38
	s_add_i32 s8, s1, s8
	s_sub_i32 s0, s0, s12
	s_lshr_b32 s8, s8, s21
	v_sub_nc_u32_e32 v1, v4, v1
	s_mul_i32 s12, s8, s37
	s_mul_hi_u32 s11, s8, s24
	s_sub_i32 s1, s1, s12
	v_sub_nc_u32_e32 v4, v0, v4
	s_mul_i32 s1, s1, s7
	s_add_i32 s11, s8, s11
	s_add_i32 s9, s9, s1
	s_lshr_b32 s11, s11, s20
	s_lshl_b32 s20, s9, 7
	s_mul_i32 s11, s11, s36
	v_dual_mov_b32 v11, v34 :: v_dual_lshlrev_b32 v20, 2, v19
	v_or_b32_e32 v0, s20, v84
	v_lshl_add_u32 v35, v3, 3, v4
	s_mov_b32 s12, 0
	s_sub_i32 s8, s8, s11
	v_and_or_b32 v37, v2, 4, v1
	s_mov_b32 s15, s12
	s_mul_i32 s8, s8, s3
	s_mov_b32 s13, s12
	s_mov_b32 s14, s12
	v_dual_mov_b32 v4, v34 :: v_dual_mov_b32 v41, s15
	s_add_i32 s0, s0, s8
	v_mad_u64_u32 v[17:18], null, s33, v20, v[0:1]
	v_dual_mov_b32 v13, v34 :: v_dual_lshlrev_b32 v0, 2, v35
	v_dual_mov_b32 v1, v34 :: v_dual_mov_b32 v2, v35
	v_mov_b32_e32 v15, v34
	v_dual_mov_b32 v3, v34 :: v_dual_mov_b32 v6, v35
	v_dual_mov_b32 v39, s13 :: v_dual_mov_b32 v40, s14
	v_mov_b32_e32 v38, s12
	s_lshl_b32 s22, s0, 7
	v_mov_b32_e32 v10, v37
	s_mov_b64 s[0:1], src_shared_base
	v_lshlrev_b32_e32 v8, 2, v37
	v_mov_b32_e32 v12, v34
	v_mov_b32_e32 v14, v37
	s_clause 0x8
	scratch_store_b128 off, v[34:37], off offset:64
	scratch_store_b128 off, v[0:3], off offset:80
	;; [unrolled: 1-line block ×9, first 2 shown]
	v_mov_b32_e32 v1, s1
	s_lshl_b32 s34, s33, 2
	v_mov_b32_e32 v0, v34
	s_clause 0x6
	scratch_store_b128 off, v[38:41], off offset:208
	scratch_store_b128 off, v[38:41], off offset:224
	;; [unrolled: 1-line block ×6, first 2 shown]
	scratch_store_b64 off, v[0:1], off offset:400
	v_mov_b32_e32 v0, 0x4000
	s_clause 0x4
	scratch_store_b128 off, v[38:41], off offset:304
	scratch_store_b128 off, v[38:41], off offset:320
	;; [unrolled: 1-line block ×4, first 2 shown]
	scratch_store_b64 off, v[0:1], off offset:416
	v_mov_b32_e32 v0, 0x2000
	v_or_b32_e32 v16, s22, v84
	s_clause 0x5
	scratch_store_b128 off, v[38:41], off offset:368
	scratch_store_b128 off, v[38:41], off offset:384
	scratch_store_b8 off, v34, off offset:409
	scratch_store_b8 off, v34, off offset:425
	scratch_store_b64 off, v[0:1], off offset:432
	scratch_store_b8 off, v34, off offset:441
	v_dual_mov_b32 v0, 0x6000 :: v_dual_add_nc_u32 v13, s34, v17
	s_clause 0x1
	scratch_store_b64 off, v[0:1], off offset:448
	scratch_store_b8 off, v34, off offset:457
	v_mad_u64_u32 v[0:1], null, s29, v20, v[16:17]
	v_add_nc_u32_e32 v1, s33, v17
	s_mov_b32 s3, 0x31004000
	s_mov_b32 s8, s18
	s_mov_b32 s9, s19
	s_mov_b32 s11, s3
	s_mov_b32 s0, s16
	s_mov_b32 s1, s17
	s_clause 0x1
	buffer_load_b32 v2, v17, s[8:11], 0 offen
	buffer_load_b32 v3, v1, s[8:11], 0 offen
	;; [unrolled: 1-line block ×3, first 2 shown]
	v_add_nc_u32_e32 v5, s33, v1
	v_add_nc_u32_e32 v7, s29, v0
	s_lshl_b32 s35, s29, 2
	v_or_b32_e32 v21, 0x84, v20
	s_mov_b64 s[14:15], src_private_base
	buffer_load_b32 v6, v5, s[8:11], 0 offen
	buffer_load_b32 v8, v7, s[0:3], 0 offen
	v_add_nc_u32_e32 v9, s33, v5
	v_add_nc_u32_e32 v11, s29, v7
	v_or_b32_e32 v22, 0x85, v20
	v_or_b32_e32 v23, 0x86, v20
	s_mov_b32 s21, s15
	buffer_load_b32 v10, v9, s[8:11], 0 offen
	buffer_load_b32 v12, v11, s[0:3], 0 offen
	v_add_nc_u32_e32 v9, s34, v9
	v_add_nc_u32_e32 v14, s29, v11
	;; [unrolled: 1-line block ×4, first 2 shown]
	s_clause 0x3
	buffer_load_b32 v9, v9, s[8:11], 0 offen
	buffer_load_b32 v5, v5, s[8:11], 0 offen
	;; [unrolled: 1-line block ×5, first 2 shown]
	v_add_nc_u32_e32 v14, s35, v14
	v_add_nc_u32_e32 v11, s35, v11
	;; [unrolled: 1-line block ×4, first 2 shown]
	s_clause 0x3
	buffer_load_b32 v14, v14, s[0:3], 0 offen
	buffer_load_b32 v11, v11, s[0:3], 0 offen
	buffer_load_b32 v7, v7, s[0:3], 0 offen
	buffer_load_b32 v0, v0, s[0:3], 0 offen
	v_or_b32_e32 v24, 0x87, v20
	v_or_b32_e32 v25, 0x83, v20
	;; [unrolled: 1-line block ×3, first 2 shown]
	v_mad_u64_u32 v[51:52], null, s33, v21, s[20:21]
	v_lshlrev_b32_e32 v16, 2, v84
	v_or_b32_e32 v27, 0x81, v20
	v_mad_u64_u32 v[52:53], null, s33, v22, s[20:21]
	v_or_b32_e32 v28, 0x80, v20
	v_mad_u64_u32 v[53:54], null, s33, v23, s[20:21]
	;; [unrolled: 2-line block ×5, first 2 shown]
	v_lshl_or_b32 v34, v19, 9, v16
	v_or_b32_e32 v16, 7, v20
	v_or_b32_e32 v32, 0x47, v20
	v_mad_u64_u32 v[57:58], null, s33, v27, s[20:21]
	v_or_b32_e32 v17, 6, v20
	v_or_b32_e32 v33, 0x43, v20
	v_mad_u64_u32 v[58:59], null, s33, v28, s[20:21]
	;; [unrolled: 3-line block ×4, first 2 shown]
	v_or_b32_e32 v20, 64, v20
	v_mad_u64_u32 v[61:62], null, s33, v31, s[20:21]
	v_mad_u64_u32 v[42:43], null, s33, v16, s[20:21]
	v_mad_u64_u32 v[62:63], null, s33, v32, s[20:21]
	v_mad_u64_u32 v[43:44], null, s33, v17, s[20:21]
	v_mad_u64_u32 v[63:64], null, s33, v33, s[20:21]
	s_mov_b32 s23, s15
	v_mad_u64_u32 v[44:45], null, s33, v18, s[20:21]
	v_mad_u64_u32 v[64:65], null, s33, v36, s[20:21]
	;; [unrolled: 1-line block ×24, first 2 shown]
	s_mov_b32 s14, 64
	s_movk_i32 s7, 0x90
	s_movk_i32 s25, 0x190
	;; [unrolled: 1-line block ×5, first 2 shown]
	s_mov_b32 s36, 0
	s_mov_b32 s19, s15
	;; [unrolled: 1-line block ×7, first 2 shown]
	s_sub_i32 s40, s30, 32
	s_lshl_b32 s41, s33, 7
	s_lshl_b32 s42, s29, 7
	s_getpc_b64 s[16:17]
	s_add_u32 s16, s16, _ZNK2ck6detail15static_for_implINS_8SequenceIJLi1ELi2ELi3ELi4ELi5ELi6ELi7ELi8ELi9ELi10ELi11ELi12ELi13ELi14ELi15EEEEEclIZNKS_80BlockwiseGemmDl_A_BK0_BM_BK1_B_BK0_BN_BK1_C_BM0_BM1_BN0_BN1_pipeline_BM0_2_BN0_2ILi256EaaiKNS_16TensorDescriptorINS_5TupleIJNS_5EmbedINS8_IJNS_17integral_constantIiLi16EEENSA_IiLi128EEENSA_IiLi4EEEEEENS8_IJNSA_IiLi512EEESD_NSA_IiLi1EEEEEELb0EEEEEENS8_IJNS2_IJLi0EEEEEEENS8_IJNS2_IJLi1ELi2ELi3EEEEEEESM_NSA_IlLl8192EEEEESQ_Li4ELi4ELi1ENS2_IJLi8ELi2EEEESR_Li4ELi4ELb0EE3RunINS7_INS8_IJNS_7UnMergeINS8_IJNSA_IiLi2EEESD_SV_SD_EEELb0EEEEEESL_NS8_IJNS2_IJLi1ELi2ELi3ELi4EEEEEEESZ_NSA_IlLl64EEEEENS_13DynamicBufferILNS_16AddressSpaceEnumE2EaSO_Lb1ELNS_22AmdBufferCoherenceEnumE0EiEES16_NS_12StaticBufferILS14_4EiLi64ELb1EEEEEvRKT_RKT0_RKT1_RT2_EUlS19_E_EEvS19_@rel32@lo+4
	s_addc_u32 s17, s17, _ZNK2ck6detail15static_for_implINS_8SequenceIJLi1ELi2ELi3ELi4ELi5ELi6ELi7ELi8ELi9ELi10ELi11ELi12ELi13ELi14ELi15EEEEEclIZNKS_80BlockwiseGemmDl_A_BK0_BM_BK1_B_BK0_BN_BK1_C_BM0_BM1_BN0_BN1_pipeline_BM0_2_BN0_2ILi256EaaiKNS_16TensorDescriptorINS_5TupleIJNS_5EmbedINS8_IJNS_17integral_constantIiLi16EEENSA_IiLi128EEENSA_IiLi4EEEEEENS8_IJNSA_IiLi512EEESD_NSA_IiLi1EEEEEELb0EEEEEENS8_IJNS2_IJLi0EEEEEEENS8_IJNS2_IJLi1ELi2ELi3EEEEEEESM_NSA_IlLl8192EEEEESQ_Li4ELi4ELi1ENS2_IJLi8ELi2EEEESR_Li4ELi4ELb0EE3RunINS7_INS8_IJNS_7UnMergeINS8_IJNSA_IiLi2EEESD_SV_SD_EEELb0EEEEEESL_NS8_IJNS2_IJLi1ELi2ELi3ELi4EEEEEEESZ_NSA_IlLl64EEEEENS_13DynamicBufferILNS_16AddressSpaceEnumE2EaSO_Lb1ELNS_22AmdBufferCoherenceEnumE0EiEES16_NS_12StaticBufferILS14_4EiLi64ELb1EEEEEvRKT_RKT0_RKT1_RT2_EUlS19_E_EEvS19_@rel32@hi+12
	s_waitcnt vmcnt(15)
	v_lshrrev_b32_e32 v16, 16, v2
	v_lshrrev_b16 v17, 8, v2
	v_lshrrev_b32_e32 v18, 24, v2
	v_and_b32_e32 v2, 0xff, v2
	s_waitcnt vmcnt(14)
	v_lshrrev_b32_e32 v19, 16, v3
	v_and_b32_e32 v21, 0xffffff00, v3
	v_lshlrev_b16 v3, 8, v3
	s_waitcnt vmcnt(13)
	v_lshrrev_b32_e32 v23, 16, v4
	v_and_b32_e32 v16, 0xff, v16
	v_and_b32_e32 v25, 0xffffff00, v19
	v_lshlrev_b16 v19, 8, v19
	v_or_b32_e32 v17, v17, v21
	s_waitcnt vmcnt(12)
	v_lshrrev_b16 v21, 8, v6
	v_lshrrev_b32_e32 v26, 16, v6
	v_lshrrev_b32_e32 v27, 24, v6
	v_or_b32_e32 v2, v2, v3
	v_and_b32_e32 v3, 0xff, v6
	v_and_b32_e32 v6, 0xff, v23
	s_waitcnt vmcnt(11)
	v_lshrrev_b32_e32 v23, 16, v8
	v_lshrrev_b16 v22, 8, v4
	v_lshrrev_b32_e32 v24, 24, v4
	v_and_b32_e32 v4, 0xff, v4
	v_and_b32_e32 v28, 0xffffff00, v8
	v_lshlrev_b16 v8, 8, v8
	v_or_b32_e32 v18, v18, v25
	v_or_b32_e32 v16, v16, v19
	v_and_b32_e32 v19, 0xff, v26
	s_waitcnt vmcnt(10)
	v_lshrrev_b32_e32 v25, 16, v10
	v_and_b32_e32 v26, 0xffffff00, v10
	v_lshlrev_b16 v10, 8, v10
	v_and_b32_e32 v29, 0xffffff00, v23
	v_lshlrev_b16 v23, 8, v23
	v_or_b32_e32 v22, v22, v28
	s_waitcnt vmcnt(9)
	v_lshrrev_b16 v28, 8, v12
	v_lshrrev_b32_e32 v30, 16, v12
	v_lshrrev_b32_e32 v31, 24, v12
	v_or_b32_e32 v4, v4, v8
	v_and_b32_e32 v8, 0xff, v12
	v_and_b32_e32 v12, 0xffffff00, v25
	v_lshlrev_b16 v25, 8, v25
	v_or_b32_e32 v21, v21, v26
	s_waitcnt vmcnt(8)
	v_lshrrev_b32_e32 v26, 16, v9
	s_waitcnt vmcnt(7)
	v_lshrrev_b32_e32 v32, 24, v5
	v_lshrrev_b32_e32 v33, 16, v5
	v_and_b32_e32 v36, 0xffffff00, v9
	v_lshrrev_b16 v50, 8, v5
	s_waitcnt vmcnt(6)
	v_lshrrev_b32_e32 v82, 16, v1
	s_waitcnt vmcnt(5)
	v_lshrrev_b32_e32 v83, 24, v13
	v_lshrrev_b32_e32 v85, 16, v13
	v_and_b32_e32 v86, 0xffffff00, v1
	v_lshrrev_b16 v87, 8, v13
	v_or_b32_e32 v3, v3, v10
	v_and_b32_e32 v10, 0xffff, v16
	v_and_b32_e32 v16, 0xffff, v18
	;; [unrolled: 1-line block ×3, first 2 shown]
	v_lshlrev_b16 v1, 8, v1
	v_and_b32_e32 v5, 0xff, v5
	v_lshlrev_b16 v9, 8, v9
	v_or_b32_e32 v18, v24, v29
	s_waitcnt vmcnt(4)
	v_lshrrev_b32_e32 v24, 16, v15
	v_and_b32_e32 v29, 0xffffff00, v15
	v_and_b32_e32 v2, 0xffff, v2
	v_and_b32_e32 v17, 0xffff, v17
	v_or_b32_e32 v6, v6, v23
	v_and_b32_e32 v23, 0xff, v30
	v_and_b32_e32 v30, 0xffff, v4
	v_lshlrev_b16 v4, 8, v15
	v_and_b32_e32 v15, 0xffff, v22
	v_or_b32_e32 v12, v27, v12
	v_or_b32_e32 v19, v19, v25
	v_and_b32_e32 v22, 0xffffff00, v26
	v_lshlrev_b16 v25, 8, v26
	v_and_b32_e32 v26, 0xff, v33
	v_or_b32_e32 v27, v50, v36
	v_and_b32_e32 v33, 0xffffff00, v82
	v_lshlrev_b16 v36, 8, v82
	v_or_b32_e32 v82, v87, v86
	v_lshlrev_b32_e32 v3, 16, v3
	v_lshlrev_b32_e32 v21, 16, v21
	v_or_b32_e32 v13, v13, v1
	v_or_b32_e32 v5, v5, v9
	v_and_b32_e32 v9, 0xffffff00, v24
	v_lshlrev_b16 v24, 8, v24
	v_or_b32_e32 v28, v28, v29
	s_waitcnt vmcnt(3)
	v_lshrrev_b32_e32 v29, 16, v14
	s_waitcnt vmcnt(2)
	v_lshrrev_b32_e32 v86, 16, v11
	;; [unrolled: 2-line block ×4, first 2 shown]
	v_and_b32_e32 v50, 0xff, v85
	v_lshrrev_b32_e32 v85, 24, v11
	v_and_b32_e32 v87, 0xffffff00, v14
	v_lshrrev_b16 v88, 8, v11
	v_lshrrev_b32_e32 v90, 24, v0
	v_and_b32_e32 v92, 0xffffff00, v7
	v_lshrrev_b16 v93, 8, v0
	v_or_b32_e32 v4, v8, v4
	v_and_b32_e32 v8, 0xff, v0
	v_lshlrev_b16 v7, 8, v7
	v_and_b32_e32 v11, 0xff, v11
	v_lshlrev_b16 v14, 8, v14
	v_or_b32_e32 v25, v26, v25
	v_or_b32_e32 v26, v83, v33
	;; [unrolled: 1-line block ×4, first 2 shown]
	v_lshlrev_b32_e32 v2, 16, v19
	v_lshlrev_b32_e32 v3, 16, v12
	v_and_b32_e32 v12, 0xffff, v13
	v_lshlrev_b32_e32 v5, 16, v5
	v_or_b32_e32 v13, v31, v9
	v_or_b32_e32 v21, v23, v24
	v_and_b32_e32 v9, 0xffffff00, v29
	v_lshlrev_b16 v23, 8, v29
	v_and_b32_e32 v24, 0xff, v86
	v_and_b32_e32 v29, 0xffffff00, v89
	v_lshlrev_b16 v31, 8, v89
	v_and_b32_e32 v33, 0xff, v91
	v_and_b32_e32 v6, 0xffff, v6
	v_or_b32_e32 v22, v32, v22
	v_or_b32_e32 v32, v50, v36
	v_lshlrev_b32_e32 v19, 16, v27
	v_or_b32_e32 v27, v88, v87
	v_or_b32_e32 v36, v93, v92
	v_lshlrev_b32_e32 v50, 16, v4
	v_lshlrev_b32_e32 v28, 16, v28
	v_or_b32_e32 v7, v8, v7
	v_or_b32_e32 v11, v11, v14
	;; [unrolled: 1-line block ×8, first 2 shown]
	v_lshlrev_b32_e32 v10, 16, v21
	v_and_b32_e32 v18, 0xffff, v18
	v_lshlrev_b32_e32 v13, 16, v13
	v_and_b32_e32 v17, 0xffff, v82
	v_or_b32_e32 v3, v16, v3
	v_and_b32_e32 v16, 0xffff, v32
	v_lshlrev_b32_e32 v25, 16, v25
	v_and_b32_e32 v26, 0xffff, v26
	v_lshlrev_b32_e32 v22, 16, v22
	v_or_b32_e32 v9, v15, v28
	v_and_b32_e32 v7, 0xffff, v7
	v_lshlrev_b32_e32 v15, 16, v11
	v_and_b32_e32 v21, 0xffff, v36
	v_lshlrev_b32_e32 v24, 16, v27
	;; [unrolled: 5-line block ×3, first 2 shown]
	v_mad_u64_u32 v[82:83], null, s29, v20, s[22:23]
	v_or_b32_e32 v8, v30, v50
	v_or_b32_e32 v11, v18, v13
	;; [unrolled: 1-line block ×9, first 2 shown]
	ds_store_b128 v34, v[8:11]
	ds_store_b128 v34, v[12:15] offset:512
	ds_store_b128 v34, v[0:3] offset:16384
	;; [unrolled: 1-line block ×3, first 2 shown]
.LBB2_1:                                ; =>This Inner Loop Header: Depth=1
	v_add_nc_u32_e32 v0, v84, v82
	v_add_nc_u32_e32 v2, v84, v81
	;; [unrolled: 1-line block ×9, first 2 shown]
	s_clause 0x7
	buffer_load_b32 v106, v0, s[0:3], 0 offen
	buffer_load_b32 v107, v2, s[0:3], 0 offen
	;; [unrolled: 1-line block ×8, first 2 shown]
	v_add_nc_u32_e32 v0, v84, v65
	v_add_nc_u32_e32 v2, v84, v64
	v_add_nc_u32_e32 v3, v84, v63
	v_add_nc_u32_e32 v4, v84, v62
	v_add_nc_u32_e32 v6, v84, v60
	v_add_nc_u32_e32 v5, v84, v61
	v_add_nc_u32_e32 v7, v84, v59
	s_clause 0x7
	buffer_load_b32 v86, v1, s[8:11], 0 offen
	buffer_load_b32 v88, v0, s[8:11], 0 offen
	;; [unrolled: 1-line block ×8, first 2 shown]
	s_waitcnt vmcnt(0) lgkmcnt(0)
	s_waitcnt_vscnt null, 0x0
	s_barrier
	s_clause 0x3
	scratch_load_b32 v2, off, off offset:80
	scratch_load_b64 v[0:1], off, off offset:400
	scratch_load_b32 v6, off, off offset:112
	scratch_load_b64 v[4:5], off, off offset:416
	s_clause 0x3
	scratch_store_b128 off, v[38:41], off
	scratch_store_b128 off, v[38:41], off offset:16
	scratch_store_b128 off, v[38:41], off offset:32
	;; [unrolled: 1-line block ×3, first 2 shown]
	v_lshrrev_b32_e32 v114, 24, v106
	v_lshrrev_b32_e32 v115, 16, v107
	v_and_b32_e32 v116, 0xffffff00, v107
	v_lshrrev_b16 v117, 8, v108
	v_lshrrev_b32_e32 v118, 16, v108
	v_lshrrev_b32_e32 v120, 16, v109
	v_and_b32_e32 v121, 0xffffff00, v109
	v_lshrrev_b32_e32 v122, 16, v110
	v_lshrrev_b32_e32 v124, 16, v111
	v_and_b32_e32 v125, 0xffffff00, v110
	v_lshrrev_b16 v126, 8, v111
	v_lshrrev_b32_e32 v127, 16, v112
	v_lshrrev_b32_e32 v129, 16, v113
	v_and_b32_e32 v130, 0xffffff00, v112
	v_lshrrev_b16 v131, 8, v113
	v_lshrrev_b16 v132, 8, v86
	s_waitcnt vmcnt(3)
	v_ashrrev_i32_e32 v3, 31, v2
	s_waitcnt vmcnt(2)
	v_add_co_u32 v32, vcc_lo, v0, v2
	s_waitcnt vmcnt(1)
	v_ashrrev_i32_e32 v7, 31, v6
	v_lshrrev_b32_e32 v133, 16, v86
	v_add_co_ci_u32_e32 v33, vcc_lo, v1, v3, vcc_lo
	s_waitcnt vmcnt(0)
	v_add_co_u32 v8, vcc_lo, v4, v6
	v_add_co_ci_u32_e32 v9, vcc_lo, v5, v7, vcc_lo
	flat_load_b128 v[0:3], v[32:33]
	v_lshrrev_b32_e32 v135, 16, v88
	v_and_b32_e32 v136, 0xffffff00, v88
	v_lshrrev_b16 v137, 8, v87
	v_lshrrev_b32_e32 v138, 16, v87
	v_lshrrev_b32_e32 v140, 16, v89
	v_and_b32_e32 v141, 0xffffff00, v89
	v_lshrrev_b32_e32 v142, 16, v36
	v_lshrrev_b32_e32 v144, 16, v50
	v_and_b32_e32 v145, 0xffffff00, v36
	v_lshrrev_b16 v146, 8, v50
	v_lshrrev_b32_e32 v147, 16, v83
	v_lshrrev_b32_e32 v149, 16, v85
	;; [unrolled: 1-line block ×9, first 2 shown]
	v_and_b32_e32 v150, 0xffffff00, v83
	v_lshrrev_b16 v151, 8, v85
	v_and_b32_e32 v152, 0xffffff00, v115
	v_lshlrev_b16 v115, 8, v115
	v_or_b32_e32 v117, v117, v121
	v_and_b32_e32 v121, 0xffffff00, v122
	v_lshlrev_b16 v122, 8, v122
	v_and_b32_e32 v124, 0xff, v124
	v_or_b32_e32 v125, v126, v125
	v_and_b32_e32 v126, 0xffffff00, v127
	v_lshlrev_b16 v127, 8, v127
	v_and_b32_e32 v129, 0xff, v129
	v_or_b32_e32 v130, v131, v130
	v_and_b32_e32 v131, 0xff, v133
	v_and_b32_e32 v133, 0xffffff00, v135
	v_lshlrev_b16 v135, 8, v135
	v_or_b32_e32 v132, v132, v136
	v_and_b32_e32 v136, 0xff, v138
	v_and_b32_e32 v138, 0xffffff00, v140
	v_lshlrev_b16 v140, 8, v140
	v_or_b32_e32 v137, v137, v141
	v_and_b32_e32 v141, 0xffffff00, v142
	v_lshlrev_b16 v142, 8, v142
	v_and_b32_e32 v144, 0xff, v144
	v_or_b32_e32 v145, v146, v145
	v_and_b32_e32 v146, 0xffffff00, v147
	v_lshlrev_b16 v147, 8, v147
	v_and_b32_e32 v149, 0xff, v149
	v_or_b32_e32 v150, v151, v150
	v_or_b32_e32 v114, v114, v152
	s_waitcnt vmcnt(0) lgkmcnt(0)
	scratch_store_b128 off, v[0:3], off
	flat_load_b128 v[4:7], v[8:9]
	s_waitcnt vmcnt(0) lgkmcnt(0)
	scratch_store_b128 off, v[4:7], off offset:32
	flat_load_b128 v[8:11], v[8:9] offset:256
	s_clause 0x7
	scratch_load_b128 v[12:15], off, off offset:144
	scratch_load_b128 v[16:19], off, off offset:176
	;; [unrolled: 1-line block ×8, first 2 shown]
	s_waitcnt vmcnt(8) lgkmcnt(0)
	scratch_store_b128 off, v[8:11], off offset:48
	flat_load_b128 v[102:105], v[32:33] offset:256
	v_lshrrev_b16 v32, 8, v106
	v_lshrrev_b32_e32 v33, 16, v106
	s_waitcnt vmcnt(8)
	v_dot4_i32_iu8 v12, v0, v4, v12 neg_lo:[1,1,0]
	v_dot4_i32_iu8 v13, v0, v5, v13 neg_lo:[1,1,0]
	v_dot4_i32_iu8 v14, v0, v6, v14 neg_lo:[1,1,0]
	v_dot4_i32_iu8 v15, v0, v7, v15 neg_lo:[1,1,0]
	s_waitcnt vmcnt(7)
	v_dot4_i32_iu8 v16, v1, v4, v16 neg_lo:[1,1,0]
	v_dot4_i32_iu8 v17, v1, v5, v17 neg_lo:[1,1,0]
	v_dot4_i32_iu8 v18, v1, v6, v18 neg_lo:[1,1,0]
	v_dot4_i32_iu8 v19, v1, v7, v19 neg_lo:[1,1,0]
	;; [unrolled: 5-line block ×7, first 2 shown]
	s_waitcnt vmcnt(1)
	v_dot4_i32_iu8 v0, v3, v8, v98 neg_lo:[1,1,0]
	v_dot4_i32_iu8 v1, v3, v9, v99 neg_lo:[1,1,0]
	;; [unrolled: 1-line block ×3, first 2 shown]
	v_mov_b32_e32 v10, s24
	v_dot4_i32_iu8 v3, v3, v11, v101 neg_lo:[1,1,0]
	v_and_b32_e32 v33, 0xff, v33
	v_or_b32_e32 v116, v32, v116
	v_and_b32_e32 v32, 0xff, v118
	v_and_b32_e32 v118, 0xffffff00, v120
	v_lshlrev_b16 v120, 8, v120
	v_dual_mov_b32 v8, s7 :: v_dual_mov_b32 v9, s19
	v_mov_b32_e32 v11, s26
	v_or_b32_e32 v115, v33, v115
	v_or_b32_e32 v118, v119, v118
	;; [unrolled: 1-line block ×15, first 2 shown]
	s_clause 0x7
	scratch_store_b128 off, v[12:15], off offset:144
	scratch_store_b128 off, v[24:27], off offset:160
	;; [unrolled: 1-line block ×8, first 2 shown]
	s_waitcnt vmcnt(0) lgkmcnt(0)
	scratch_store_b128 off, v[102:105], off offset:16
	v_dual_mov_b32 v0, s14 :: v_dual_mov_b32 v1, s15
	v_dual_mov_b32 v2, s25 :: v_dual_mov_b32 v3, s27
	;; [unrolled: 1-line block ×4, first 2 shown]
	s_swappc_b64 s[30:31], s[16:17]
	s_clause 0xe
	scratch_load_b32 v135, off, off offset:16
	scratch_load_b32 v136, off, off offset:32
	scratch_load_b128 v[0:3], off, off offset:272
	scratch_load_b128 v[4:7], off, off offset:32
	;; [unrolled: 1-line block ×6, first 2 shown]
	scratch_load_b32 v8, off, off offset:48
	scratch_load_b128 v[24:27], off, off offset:288
	scratch_load_b128 v[28:31], off, off offset:48
	;; [unrolled: 1-line block ×5, first 2 shown]
	scratch_load_b64 v[32:33], off, off offset:432
	s_waitcnt vmcnt(11)
	v_lshlrev_b16 v4, 8, v107
	s_waitcnt vmcnt(4)
	v_and_b32_e32 v28, 0xff, v106
	v_lshlrev_b16 v102, 8, v109
	v_and_b32_e32 v103, 0xff, v108
	v_and_b32_e32 v104, 0xffff, v116
	v_lshlrev_b32_e32 v105, 16, v117
	v_and_b32_e32 v106, 0xffff, v115
	v_lshlrev_b32_e32 v107, 16, v119
	v_lshlrev_b16 v112, 8, v112
	v_and_b32_e32 v113, 0xff, v113
	v_lshlrev_b16 v110, 8, v110
	v_and_b32_e32 v111, 0xff, v111
	v_or_b32_e32 v4, v28, v4
	v_or_b32_e32 v28, v103, v102
	;; [unrolled: 1-line block ×6, first 2 shown]
	v_and_b32_e32 v4, 0xffff, v4
	v_lshlrev_b32_e32 v28, 16, v28
	v_and_b32_e32 v108, 0xffff, v114
	v_lshlrev_b32_e32 v109, 16, v118
	v_and_b32_e32 v114, 0xffff, v130
	v_lshlrev_b32_e32 v115, 16, v125
	v_and_b32_e32 v116, 0xffff, v123
	v_lshlrev_b32_e32 v117, 16, v121
	v_and_b32_e32 v118, 0xffff, v122
	v_lshlrev_b32_e32 v119, 16, v120
	v_and_b32_e32 v110, 0xffff, v102
	v_lshlrev_b32_e32 v106, 16, v106
	v_or_b32_e32 v102, v4, v28
	v_or_b32_e32 v105, v108, v109
	;; [unrolled: 1-line block ×6, first 2 shown]
	v_dot4_i32_iu8 v0, v135, v136, v0 neg_lo:[1,1,0]
	v_dot4_i32_iu8 v1, v135, v5, v1 neg_lo:[1,1,0]
	;; [unrolled: 1-line block ×19, first 2 shown]
	s_waitcnt vmcnt(3)
	v_dot4_i32_iu8 v24, v9, v8, v90 neg_lo:[1,1,0]
	v_dot4_i32_iu8 v25, v9, v29, v91 neg_lo:[1,1,0]
	;; [unrolled: 1-line block ×4, first 2 shown]
	s_waitcnt vmcnt(0)
	v_add_co_u32 v28, vcc_lo, v32, v34
	v_dot4_i32_iu8 v16, v10, v136, v16 neg_lo:[1,1,0]
	v_dot4_i32_iu8 v90, v10, v8, v94 neg_lo:[1,1,0]
	;; [unrolled: 1-line block ×9, first 2 shown]
	v_add_co_ci_u32_e32 v29, vcc_lo, 0, v33, vcc_lo
	s_clause 0x7
	scratch_store_b128 off, v[0:3], off offset:272
	scratch_store_b128 off, v[20:23], off offset:288
	;; [unrolled: 1-line block ×8, first 2 shown]
	s_clause 0x1
	flat_store_b128 v[28:29], v[102:105]
	flat_store_b128 v[28:29], v[106:109] offset:512
	scratch_load_b64 v[8:9], off, off offset:448
	v_lshlrev_b16 v0, 8, v88
	v_and_b32_e32 v1, 0xff, v86
	v_lshlrev_b16 v2, 8, v89
	v_and_b32_e32 v3, 0xff, v87
	v_and_b32_e32 v4, 0xffff, v132
	v_lshlrev_b32_e32 v5, 16, v137
	v_and_b32_e32 v10, 0xffff, v124
	v_lshlrev_b32_e32 v11, 16, v127
	v_lshlrev_b16 v12, 8, v83
	v_and_b32_e32 v13, 0xff, v85
	v_lshlrev_b16 v14, 8, v36
	v_and_b32_e32 v15, 0xff, v50
	v_or_b32_e32 v0, v1, v0
	v_or_b32_e32 v85, v3, v2
	;; [unrolled: 1-line block ×6, first 2 shown]
	v_and_b32_e32 v6, 0xffff, v126
	v_lshlrev_b32_e32 v7, 16, v128
	v_and_b32_e32 v0, 0xffff, v0
	v_lshlrev_b32_e32 v11, 16, v85
	;; [unrolled: 2-line block ×6, first 2 shown]
	v_or_b32_e32 v2, v6, v7
	v_or_b32_e32 v0, v0, v11
	v_add_nc_u32_e32 v22, v84, v74
	v_or_b32_e32 v5, v16, v17
	v_or_b32_e32 v6, v18, v19
	;; [unrolled: 1-line block ×4, first 2 shown]
	v_add_nc_u32_e32 v24, v84, v73
	v_add_nc_u32_e32 v25, v84, v72
	;; [unrolled: 1-line block ×15, first 2 shown]
	s_waitcnt vmcnt(0)
	v_add_co_u32 v10, vcc_lo, v8, v34
	v_add_co_ci_u32_e32 v11, vcc_lo, 0, v9, vcc_lo
	s_clause 0x1
	flat_store_b128 v[10:11], v[0:3]
	flat_store_b128 v[10:11], v[4:7] offset:512
	s_clause 0x7
	buffer_load_b32 v102, v22, s[0:3], 0 offen
	buffer_load_b32 v103, v24, s[0:3], 0 offen
	;; [unrolled: 1-line block ×8, first 2 shown]
	s_clause 0x7
	buffer_load_b32 v110, v23, s[8:11], 0 offen
	buffer_load_b32 v111, v31, s[8:11], 0 offen
	;; [unrolled: 1-line block ×8, first 2 shown]
	s_waitcnt vmcnt(0) lgkmcnt(0)
	s_waitcnt_vscnt null, 0x0
	s_barrier
	s_clause 0x1
	scratch_load_b32 v0, off, off offset:80
	scratch_load_b32 v4, off, off offset:112
	s_clause 0x3
	scratch_store_b128 off, v[38:41], off
	scratch_store_b128 off, v[38:41], off offset:16
	scratch_store_b128 off, v[38:41], off offset:32
	;; [unrolled: 1-line block ×3, first 2 shown]
	v_lshrrev_b32_e32 v114, 24, v102
	v_lshrrev_b32_e32 v115, 16, v103
	v_and_b32_e32 v116, 0xffffff00, v103
	v_lshrrev_b16 v117, 8, v104
	v_lshrrev_b32_e32 v118, 16, v104
	v_lshrrev_b32_e32 v120, 16, v105
	v_and_b32_e32 v121, 0xffffff00, v105
	v_lshrrev_b32_e32 v122, 16, v106
	v_lshrrev_b32_e32 v124, 16, v107
	v_and_b32_e32 v125, 0xffffff00, v106
	v_lshrrev_b16 v126, 8, v107
	v_lshrrev_b32_e32 v127, 16, v108
	v_lshrrev_b32_e32 v129, 16, v109
	v_and_b32_e32 v130, 0xffffff00, v108
	v_lshrrev_b16 v131, 8, v109
	v_lshrrev_b16 v132, 8, v110
	v_lshrrev_b32_e32 v133, 16, v110
	s_waitcnt vmcnt(1)
	v_ashrrev_i32_e32 v1, 31, v0
	v_add_co_u32 v32, vcc_lo, v32, v0
	s_waitcnt vmcnt(0)
	v_ashrrev_i32_e32 v5, 31, v4
	v_lshrrev_b32_e32 v135, 16, v111
	v_add_co_ci_u32_e32 v33, vcc_lo, v33, v1, vcc_lo
	v_add_co_u32 v8, vcc_lo, v8, v4
	s_delay_alu instid0(VALU_DEP_4)
	v_add_co_ci_u32_e32 v9, vcc_lo, v9, v5, vcc_lo
	flat_load_b128 v[0:3], v[32:33]
	v_and_b32_e32 v136, 0xffffff00, v111
	v_lshrrev_b16 v137, 8, v112
	v_lshrrev_b32_e32 v138, 16, v112
	v_lshrrev_b32_e32 v140, 16, v113
	v_and_b32_e32 v141, 0xffffff00, v113
	v_lshrrev_b32_e32 v142, 16, v36
	v_lshrrev_b32_e32 v144, 16, v50
	v_and_b32_e32 v145, 0xffffff00, v36
	v_lshrrev_b16 v146, 8, v50
	v_lshrrev_b32_e32 v147, 16, v83
	v_lshrrev_b32_e32 v149, 16, v85
	;; [unrolled: 1-line block ×9, first 2 shown]
	v_and_b32_e32 v150, 0xffffff00, v83
	v_lshrrev_b16 v151, 8, v85
	v_and_b32_e32 v152, 0xffffff00, v115
	v_lshlrev_b16 v115, 8, v115
	v_or_b32_e32 v117, v117, v121
	v_and_b32_e32 v121, 0xffffff00, v122
	v_lshlrev_b16 v122, 8, v122
	v_and_b32_e32 v124, 0xff, v124
	v_or_b32_e32 v125, v126, v125
	v_and_b32_e32 v126, 0xffffff00, v127
	v_lshlrev_b16 v127, 8, v127
	v_and_b32_e32 v129, 0xff, v129
	v_or_b32_e32 v130, v131, v130
	v_and_b32_e32 v131, 0xff, v133
	v_and_b32_e32 v133, 0xffffff00, v135
	v_lshlrev_b16 v135, 8, v135
	v_or_b32_e32 v132, v132, v136
	v_and_b32_e32 v136, 0xff, v138
	v_and_b32_e32 v138, 0xffffff00, v140
	v_lshlrev_b16 v140, 8, v140
	v_or_b32_e32 v137, v137, v141
	v_and_b32_e32 v141, 0xffffff00, v142
	v_lshlrev_b16 v142, 8, v142
	v_and_b32_e32 v144, 0xff, v144
	v_or_b32_e32 v145, v146, v145
	v_and_b32_e32 v146, 0xffffff00, v147
	v_lshlrev_b16 v147, 8, v147
	v_and_b32_e32 v149, 0xff, v149
	v_or_b32_e32 v150, v151, v150
	v_or_b32_e32 v114, v114, v152
	s_waitcnt vmcnt(0) lgkmcnt(0)
	scratch_store_b128 off, v[0:3], off
	flat_load_b128 v[4:7], v[8:9]
	s_waitcnt vmcnt(0) lgkmcnt(0)
	scratch_store_b128 off, v[4:7], off offset:32
	flat_load_b128 v[8:11], v[8:9] offset:256
	s_clause 0x7
	scratch_load_b128 v[12:15], off, off offset:144
	scratch_load_b128 v[16:19], off, off offset:176
	scratch_load_b128 v[20:23], off, off offset:208
	scratch_load_b128 v[24:27], off, off offset:240
	scratch_load_b128 v[28:31], off, off offset:160
	scratch_load_b128 v[86:89], off, off offset:192
	scratch_load_b128 v[90:93], off, off offset:224
	scratch_load_b128 v[94:97], off, off offset:256
	s_waitcnt vmcnt(8) lgkmcnt(0)
	scratch_store_b128 off, v[8:11], off offset:48
	flat_load_b128 v[98:101], v[32:33] offset:256
	v_lshrrev_b16 v32, 8, v102
	v_lshrrev_b32_e32 v33, 16, v102
	s_waitcnt vmcnt(8)
	v_dot4_i32_iu8 v12, v0, v4, v12 neg_lo:[1,1,0]
	v_dot4_i32_iu8 v13, v0, v5, v13 neg_lo:[1,1,0]
	v_dot4_i32_iu8 v14, v0, v6, v14 neg_lo:[1,1,0]
	v_dot4_i32_iu8 v15, v0, v7, v15 neg_lo:[1,1,0]
	s_waitcnt vmcnt(7)
	v_dot4_i32_iu8 v16, v1, v4, v16 neg_lo:[1,1,0]
	v_dot4_i32_iu8 v17, v1, v5, v17 neg_lo:[1,1,0]
	v_dot4_i32_iu8 v18, v1, v6, v18 neg_lo:[1,1,0]
	v_dot4_i32_iu8 v19, v1, v7, v19 neg_lo:[1,1,0]
	;; [unrolled: 5-line block ×8, first 2 shown]
	v_mov_b32_e32 v11, s21
	v_and_b32_e32 v33, 0xff, v33
	v_or_b32_e32 v116, v32, v116
	v_and_b32_e32 v32, 0xff, v118
	v_and_b32_e32 v118, 0xffffff00, v120
	v_lshlrev_b16 v120, 8, v120
	v_dual_mov_b32 v8, s7 :: v_dual_mov_b32 v9, s19
	v_mov_b32_e32 v10, s13
	v_or_b32_e32 v115, v33, v115
	v_or_b32_e32 v118, v119, v118
	;; [unrolled: 1-line block ×15, first 2 shown]
	s_clause 0x7
	scratch_store_b128 off, v[12:15], off offset:144
	scratch_store_b128 off, v[24:27], off offset:160
	;; [unrolled: 1-line block ×8, first 2 shown]
	s_waitcnt vmcnt(0) lgkmcnt(0)
	scratch_store_b128 off, v[98:101], off offset:16
	v_dual_mov_b32 v0, s14 :: v_dual_mov_b32 v1, s15
	v_dual_mov_b32 v2, s18 :: v_dual_mov_b32 v3, s23
	;; [unrolled: 1-line block ×4, first 2 shown]
	s_swappc_b64 s[30:31], s[16:17]
	s_clause 0xe
	scratch_load_b32 v135, off, off offset:16
	scratch_load_b32 v136, off, off offset:32
	scratch_load_b128 v[2:5], off, off offset:272
	scratch_load_b128 v[6:9], off, off offset:32
	;; [unrolled: 1-line block ×6, first 2 shown]
	scratch_load_b32 v10, off, off offset:48
	scratch_load_b128 v[26:29], off, off offset:288
	scratch_load_b128 v[30:33], off, off offset:48
	scratch_load_b128 v[86:89], off, off offset:320
	scratch_load_b128 v[90:93], off, off offset:352
	scratch_load_b128 v[94:97], off, off offset:384
	scratch_load_b64 v[0:1], off, off offset:400
	s_waitcnt vmcnt(11)
	v_lshlrev_b16 v6, 8, v103
	s_waitcnt vmcnt(4)
	v_and_b32_e32 v30, 0xff, v102
	v_lshlrev_b16 v98, 8, v105
	v_and_b32_e32 v99, 0xff, v104
	v_and_b32_e32 v100, 0xffff, v116
	v_lshlrev_b32_e32 v101, 16, v117
	v_and_b32_e32 v102, 0xffff, v115
	v_lshlrev_b32_e32 v103, 16, v119
	v_lshlrev_b16 v108, 8, v108
	v_and_b32_e32 v109, 0xff, v109
	v_lshlrev_b16 v106, 8, v106
	v_and_b32_e32 v107, 0xff, v107
	v_or_b32_e32 v6, v30, v6
	v_or_b32_e32 v30, v99, v98
	;; [unrolled: 1-line block ×6, first 2 shown]
	v_and_b32_e32 v6, 0xffff, v6
	v_lshlrev_b32_e32 v30, 16, v30
	v_and_b32_e32 v104, 0xffff, v114
	v_lshlrev_b32_e32 v105, 16, v118
	;; [unrolled: 2-line block ×6, first 2 shown]
	v_or_b32_e32 v98, v6, v30
	v_or_b32_e32 v101, v104, v105
	v_or_b32_e32 v103, v114, v115
	v_or_b32_e32 v104, v116, v117
	v_or_b32_e32 v105, v118, v119
	v_or_b32_e32 v102, v106, v102
	v_add_nc_u32_e32 v42, s41, v42
	v_add_nc_u32_e32 v43, s41, v43
	;; [unrolled: 1-line block ×40, first 2 shown]
	s_add_i32 s12, s12, 32
	s_delay_alu instid0(SALU_CYCLE_1)
	s_cmp_lt_i32 s12, s40
	v_dot4_i32_iu8 v2, v135, v136, v2 neg_lo:[1,1,0]
	v_dot4_i32_iu8 v3, v135, v7, v3 neg_lo:[1,1,0]
	;; [unrolled: 1-line block ×19, first 2 shown]
	s_waitcnt vmcnt(3)
	v_dot4_i32_iu8 v26, v11, v10, v86 neg_lo:[1,1,0]
	v_dot4_i32_iu8 v27, v11, v31, v87 neg_lo:[1,1,0]
	;; [unrolled: 1-line block ×4, first 2 shown]
	s_waitcnt vmcnt(0)
	v_add_co_u32 v30, vcc_lo, v0, v34
	v_dot4_i32_iu8 v18, v12, v136, v18 neg_lo:[1,1,0]
	v_dot4_i32_iu8 v86, v12, v10, v90 neg_lo:[1,1,0]
	;; [unrolled: 1-line block ×9, first 2 shown]
	v_add_co_ci_u32_e32 v31, vcc_lo, 0, v1, vcc_lo
	s_clause 0x7
	scratch_store_b128 off, v[2:5], off offset:272
	scratch_store_b128 off, v[22:25], off offset:288
	;; [unrolled: 1-line block ×8, first 2 shown]
	s_clause 0x1
	flat_store_b128 v[30:31], v[98:101]
	flat_store_b128 v[30:31], v[102:105] offset:512
	scratch_load_b64 v[2:3], off, off offset:416
	v_lshlrev_b16 v4, 8, v111
	v_and_b32_e32 v5, 0xff, v110
	v_lshlrev_b16 v6, 8, v113
	v_and_b32_e32 v7, 0xff, v112
	v_and_b32_e32 v8, 0xffff, v132
	v_lshlrev_b32_e32 v9, 16, v137
	v_and_b32_e32 v12, 0xffff, v124
	v_lshlrev_b32_e32 v13, 16, v127
	v_lshlrev_b16 v14, 8, v83
	v_and_b32_e32 v15, 0xff, v85
	v_lshlrev_b16 v16, 8, v36
	v_and_b32_e32 v17, 0xff, v50
	v_or_b32_e32 v4, v5, v4
	v_or_b32_e32 v24, v7, v6
	;; [unrolled: 1-line block ×6, first 2 shown]
	v_and_b32_e32 v10, 0xffff, v126
	v_lshlrev_b32_e32 v11, 16, v128
	v_and_b32_e32 v4, 0xffff, v4
	v_lshlrev_b32_e32 v13, 16, v24
	;; [unrolled: 2-line block ×6, first 2 shown]
	v_or_b32_e32 v6, v10, v11
	v_or_b32_e32 v4, v4, v13
	;; [unrolled: 1-line block ×6, first 2 shown]
	s_waitcnt vmcnt(0)
	v_add_co_u32 v12, vcc_lo, v2, v34
	v_add_co_ci_u32_e32 v13, vcc_lo, 0, v3, vcc_lo
	s_clause 0x1
	flat_store_b128 v[12:13], v[4:7]
	flat_store_b128 v[12:13], v[8:11] offset:512
	s_cbranch_scc1 .LBB2_1
; %bb.2:
	s_waitcnt lgkmcnt(0)
	s_waitcnt_vscnt null, 0x0
	s_barrier
	s_clause 0x1
	scratch_load_b32 v4, off, off offset:80
	scratch_load_b32 v8, off, off offset:112
	s_mov_b32 s36, 0
	s_mul_i32 s12, s29, 60
	s_mov_b32 s39, s36
	s_mov_b32 s37, s36
	;; [unrolled: 1-line block ×3, first 2 shown]
	s_delay_alu instid0(SALU_CYCLE_1)
	v_dual_mov_b32 v41, s39 :: v_dual_mov_b32 v40, s38
	v_dual_mov_b32 v39, s37 :: v_dual_mov_b32 v38, s36
	s_clause 0x3
	scratch_store_b128 off, v[38:41], off
	scratch_store_b128 off, v[38:41], off offset:16
	scratch_store_b128 off, v[38:41], off offset:32
	;; [unrolled: 1-line block ×3, first 2 shown]
	v_add3_u32 v12, v84, v49, s12
	v_add3_u32 v13, v84, v48, s12
	s_mul_i32 s30, s33, 60
	v_add3_u32 v14, v84, v47, s12
	v_add3_u32 v15, v84, v43, s30
	s_waitcnt vmcnt(1)
	v_ashrrev_i32_e32 v5, 31, v4
	v_add_co_u32 v32, vcc_lo, v0, v4
	s_waitcnt vmcnt(0)
	v_ashrrev_i32_e32 v0, 31, v8
	s_delay_alu instid0(VALU_DEP_3) | instskip(SKIP_1) | instid1(VALU_DEP_3)
	v_add_co_ci_u32_e32 v33, vcc_lo, v1, v5, vcc_lo
	v_add_co_u32 v8, vcc_lo, v2, v8
	v_add_co_ci_u32_e32 v9, vcc_lo, v3, v0, vcc_lo
	flat_load_b128 v[4:7], v[32:33]
	s_waitcnt vmcnt(0) lgkmcnt(0)
	scratch_store_b128 off, v[4:7], off
	flat_load_b128 v[0:3], v[8:9]
	s_waitcnt vmcnt(0) lgkmcnt(0)
	scratch_store_b128 off, v[0:3], off offset:32
	flat_load_b128 v[8:11], v[8:9] offset:256
	s_clause 0x1
	buffer_load_b32 v36, v12, s[0:3], 0 offen
	buffer_load_b32 v58, v13, s[0:3], 0 offen
	v_add3_u32 v12, v84, v46, s12
	v_add3_u32 v13, v84, v45, s30
	s_clause 0x1
	buffer_load_b32 v59, v14, s[0:3], 0 offen
	buffer_load_b32 v60, v12, s[0:3], 0 offen
	v_add3_u32 v14, v84, v44, s30
	buffer_load_b32 v62, v13, s[8:11], 0 offen
	v_add3_u32 v13, v84, v42, s30
	v_add_nc_u32_e32 v12, s35, v12
	s_clause 0x2
	buffer_load_b32 v63, v14, s[8:11], 0 offen
	buffer_load_b32 v64, v15, s[8:11], 0 offen
	;; [unrolled: 1-line block ×3, first 2 shown]
	v_add_nc_u32_e32 v13, s34, v13
	buffer_load_b32 v61, v12, s[0:3], 0 offen
	v_subrev_nc_u32_e32 v12, s29, v12
	buffer_load_b32 v66, v13, s[8:11], 0 offen
	v_subrev_nc_u32_e32 v13, s33, v13
	;; [unrolled: 2-line block ×5, first 2 shown]
	buffer_load_b32 v70, v13, s[8:11], 0 offen
	buffer_load_b32 v71, v12, s[0:3], 0 offen
	v_subrev_nc_u32_e32 v12, s33, v13
	s_mov_b64 s[0:1], src_private_base
	buffer_load_b32 v72, v12, s[8:11], 0 offen
	s_clause 0x7
	scratch_load_b128 v[12:15], off, off offset:144
	scratch_load_b128 v[16:19], off, off offset:176
	scratch_load_b128 v[20:23], off, off offset:208
	scratch_load_b128 v[24:27], off, off offset:240
	scratch_load_b128 v[28:31], off, off offset:160
	scratch_load_b128 v[42:45], off, off offset:192
	scratch_load_b128 v[46:49], off, off offset:224
	scratch_load_b128 v[50:53], off, off offset:256
	s_waitcnt vmcnt(24) lgkmcnt(0)
	scratch_store_b128 off, v[8:11], off offset:48
	flat_load_b128 v[54:57], v[32:33] offset:256
	s_waitcnt vmcnt(24)
	v_lshrrev_b16 v32, 8, v36
	v_lshrrev_b32_e32 v33, 16, v36
	s_waitcnt vmcnt(23)
	v_lshrrev_b32_e32 v74, 16, v58
	v_and_b32_e32 v75, 0xffffff00, v58
	s_waitcnt vmcnt(22)
	v_lshrrev_b16 v76, 8, v59
	v_lshrrev_b32_e32 v77, 16, v59
	s_waitcnt vmcnt(21)
	v_lshrrev_b32_e32 v79, 16, v60
	v_and_b32_e32 v80, 0xffffff00, v60
	v_lshrrev_b32_e32 v78, 24, v59
	s_waitcnt vmcnt(20)
	v_lshrrev_b16 v81, 8, v62
	v_lshrrev_b32_e32 v82, 16, v62
	s_waitcnt vmcnt(19)
	v_lshrrev_b32_e32 v84, 16, v63
	v_and_b32_e32 v85, 0xffffff00, v63
	s_waitcnt vmcnt(18)
	v_lshrrev_b16 v86, 8, v64
	v_lshrrev_b32_e32 v87, 16, v64
	s_waitcnt vmcnt(17)
	v_lshrrev_b32_e32 v89, 16, v65
	v_and_b32_e32 v90, 0xffffff00, v65
	v_and_b32_e32 v33, 0xff, v33
	;; [unrolled: 1-line block ×3, first 2 shown]
	v_lshlrev_b16 v74, 8, v74
	v_lshrrev_b32_e32 v73, 24, v36
	v_lshrrev_b32_e32 v83, 24, v62
	;; [unrolled: 1-line block ×3, first 2 shown]
	v_and_b32_e32 v82, 0xff, v82
	v_and_b32_e32 v93, 0xffffff00, v84
	v_lshlrev_b16 v84, 8, v84
	s_waitcnt vmcnt(16)
	v_and_b32_e32 v92, 0xffffff00, v61
	s_waitcnt vmcnt(15)
	v_and_b32_e32 v94, 0xffffff00, v66
	v_or_b32_e32 v83, v83, v93
	s_waitcnt vmcnt(13)
	v_lshrrev_b16 v93, 8, v68
	s_waitcnt vmcnt(8)
	v_dot4_i32_iu8 v12, v4, v0, v12 neg_lo:[1,1,0]
	v_dot4_i32_iu8 v13, v4, v1, v13 neg_lo:[1,1,0]
	v_dot4_i32_iu8 v14, v4, v2, v14 neg_lo:[1,1,0]
	v_dot4_i32_iu8 v15, v4, v3, v15 neg_lo:[1,1,0]
	s_waitcnt vmcnt(7)
	v_dot4_i32_iu8 v16, v5, v0, v16 neg_lo:[1,1,0]
	v_dot4_i32_iu8 v17, v5, v1, v17 neg_lo:[1,1,0]
	v_dot4_i32_iu8 v18, v5, v2, v18 neg_lo:[1,1,0]
	v_dot4_i32_iu8 v19, v5, v3, v19 neg_lo:[1,1,0]
	s_waitcnt vmcnt(6)
	v_dot4_i32_iu8 v20, v6, v0, v20 neg_lo:[1,1,0]
	v_dot4_i32_iu8 v21, v6, v1, v21 neg_lo:[1,1,0]
	v_dot4_i32_iu8 v22, v6, v2, v22 neg_lo:[1,1,0]
	v_dot4_i32_iu8 v23, v6, v3, v23 neg_lo:[1,1,0]
	s_waitcnt vmcnt(5)
	v_dot4_i32_iu8 v0, v7, v0, v24 neg_lo:[1,1,0]
	v_dot4_i32_iu8 v1, v7, v1, v25 neg_lo:[1,1,0]
	v_dot4_i32_iu8 v2, v7, v2, v26 neg_lo:[1,1,0]
	v_dot4_i32_iu8 v3, v7, v3, v27 neg_lo:[1,1,0]
	s_waitcnt vmcnt(4)
	v_dot4_i32_iu8 v24, v4, v8, v28 neg_lo:[1,1,0]
	v_dot4_i32_iu8 v25, v4, v9, v29 neg_lo:[1,1,0]
	v_dot4_i32_iu8 v26, v4, v10, v30 neg_lo:[1,1,0]
	v_dot4_i32_iu8 v27, v4, v11, v31 neg_lo:[1,1,0]
	s_waitcnt vmcnt(3)
	v_dot4_i32_iu8 v28, v5, v8, v42 neg_lo:[1,1,0]
	v_dot4_i32_iu8 v29, v5, v9, v43 neg_lo:[1,1,0]
	v_dot4_i32_iu8 v30, v5, v10, v44 neg_lo:[1,1,0]
	v_dot4_i32_iu8 v31, v5, v11, v45 neg_lo:[1,1,0]
	s_waitcnt vmcnt(2)
	v_dot4_i32_iu8 v42, v6, v8, v46 neg_lo:[1,1,0]
	v_dot4_i32_iu8 v43, v6, v9, v47 neg_lo:[1,1,0]
	v_dot4_i32_iu8 v44, v6, v10, v48 neg_lo:[1,1,0]
	v_dot4_i32_iu8 v45, v6, v11, v49 neg_lo:[1,1,0]
	s_waitcnt vmcnt(1)
	v_dot4_i32_iu8 v4, v7, v8, v50 neg_lo:[1,1,0]
	v_dot4_i32_iu8 v5, v7, v9, v51 neg_lo:[1,1,0]
	v_dot4_i32_iu8 v6, v7, v10, v52 neg_lo:[1,1,0]
	v_dot4_i32_iu8 v7, v7, v11, v53 neg_lo:[1,1,0]
	v_mov_b32_e32 v9, s19
	v_or_b32_e32 v86, v86, v90
	v_lshrrev_b32_e32 v90, 16, v66
	v_mov_b32_e32 v8, s7
	v_or_b32_e32 v73, v73, v91
	v_lshrrev_b16 v91, 8, v67
	v_mov_b32_e32 v11, s26
	v_or_b32_e32 v82, v82, v84
	v_lshrrev_b32_e32 v96, 16, v71
	v_lshrrev_b32_e32 v99, 16, v72
	v_lshrrev_b16 v97, 8, v71
	v_lshrrev_b32_e32 v98, 24, v72
	v_lshrrev_b16 v100, 8, v72
	s_clause 0x7
	scratch_store_b128 off, v[12:15], off offset:144
	scratch_store_b128 off, v[24:27], off offset:160
	;; [unrolled: 1-line block ×8, first 2 shown]
	s_waitcnt vmcnt(0) lgkmcnt(0)
	scratch_store_b128 off, v[54:57], off offset:16
	v_dual_mov_b32 v7, s1 :: v_dual_mov_b32 v2, s25
	v_or_b32_e32 v75, v32, v75
	v_dual_mov_b32 v5, s1 :: v_dual_and_b32 v32, 0xff, v77
	v_dual_mov_b32 v10, s24 :: v_dual_and_b32 v77, 0xffffff00, v79
	v_lshlrev_b16 v79, 8, v79
	v_mov_b32_e32 v3, s27
	v_or_b32_e32 v76, v76, v80
	v_lshrrev_b32_e32 v80, 16, v61
	v_or_b32_e32 v77, v78, v77
	v_or_b32_e32 v78, v32, v79
	v_mov_b32_e32 v4, 0
	v_or_b32_e32 v81, v81, v85
	v_and_b32_e32 v85, 0xff, v87
	v_and_b32_e32 v87, 0xffffff00, v89
	v_lshlrev_b16 v89, 8, v89
	v_and_b32_e32 v32, 0xffffff00, v80
	v_lshlrev_b16 v79, 8, v80
	v_lshrrev_b32_e32 v80, 16, v67
	v_mov_b32_e32 v6, 32
	v_or_b32_e32 v74, v33, v74
	v_lshrrev_b32_e32 v33, 24, v67
	v_or_b32_e32 v84, v88, v87
	v_or_b32_e32 v85, v85, v89
	v_and_b32_e32 v87, 0xffffff00, v90
	v_lshrrev_b32_e32 v88, 24, v68
	v_lshlrev_b16 v89, 8, v90
	v_lshrrev_b32_e32 v90, 16, v68
	v_or_b32_e32 v95, v33, v32
	v_and_b32_e32 v32, 0xff, v80
	v_lshrrev_b32_e32 v33, 16, v69
	v_or_b32_e32 v80, v91, v92
	v_or_b32_e32 v87, v88, v87
	v_and_b32_e32 v88, 0xff, v90
	v_or_b32_e32 v90, v93, v94
	v_lshrrev_b32_e32 v92, 16, v70
	v_or_b32_e32 v79, v32, v79
	v_and_b32_e32 v32, 0xffffff00, v33
	v_lshrrev_b32_e32 v94, 24, v71
	v_and_b32_e32 v91, 0xffffff00, v69
	v_and_b32_e32 v93, 0xffffff00, v70
	v_lshlrev_b16 v33, 8, v33
	v_or_b32_e32 v88, v88, v89
	v_and_b32_e32 v89, 0xffffff00, v92
	v_lshlrev_b16 v92, 8, v92
	v_or_b32_e32 v94, v94, v32
	v_and_b32_e32 v32, 0xff, v96
	v_and_b32_e32 v96, 0xff, v99
	v_dual_mov_b32 v0, s14 :: v_dual_mov_b32 v1, s15
	v_or_b32_e32 v91, v97, v91
	v_or_b32_e32 v89, v98, v89
	;; [unrolled: 1-line block ×5, first 2 shown]
	s_swappc_b64 s[30:31], s[16:17]
	s_clause 0xe
	scratch_load_b32 v96, off, off offset:16
	scratch_load_b32 v98, off, off offset:32
	scratch_load_b128 v[0:3], off, off offset:272
	scratch_load_b128 v[4:7], off, off offset:32
	scratch_load_b128 v[8:11], off, off offset:16
	scratch_load_b128 v[12:15], off, off offset:304
	scratch_load_b128 v[16:19], off, off offset:336
	scratch_load_b128 v[20:23], off, off offset:368
	scratch_load_b32 v8, off, off offset:48
	scratch_load_b128 v[24:27], off, off offset:288
	scratch_load_b128 v[28:31], off, off offset:48
	;; [unrolled: 1-line block ×5, first 2 shown]
	scratch_load_b64 v[32:33], off, off offset:432
	s_waitcnt vmcnt(11)
	v_lshlrev_b16 v4, 8, v58
	s_waitcnt vmcnt(4)
	v_and_b32_e32 v28, 0xff, v36
	v_lshlrev_b16 v36, 8, v60
	v_and_b32_e32 v54, 0xff, v59
	v_lshlrev_b16 v69, 8, v69
	;; [unrolled: 2-line block ×3, first 2 shown]
	v_and_b32_e32 v67, 0xff, v67
	v_or_b32_e32 v4, v28, v4
	v_or_b32_e32 v28, v54, v36
	v_and_b32_e32 v55, 0xffff, v75
	v_lshlrev_b32_e32 v56, 16, v76
	v_and_b32_e32 v57, 0xffff, v74
	v_lshlrev_b32_e32 v58, 16, v78
	v_or_b32_e32 v36, v71, v69
	v_or_b32_e32 v54, v67, v61
	v_and_b32_e32 v4, 0xffff, v4
	v_lshlrev_b32_e32 v28, 16, v28
	v_and_b32_e32 v59, 0xffff, v73
	v_lshlrev_b32_e32 v60, 16, v77
	;; [unrolled: 2-line block ×5, first 2 shown]
	v_or_b32_e32 v55, v55, v56
	v_or_b32_e32 v56, v57, v58
	v_and_b32_e32 v36, 0xffff, v36
	v_lshlrev_b32_e32 v58, 16, v54
	v_or_b32_e32 v54, v4, v28
	v_or_b32_e32 v57, v59, v60
	;; [unrolled: 1-line block ×6, first 2 shown]
	v_dot4_i32_iu8 v0, v96, v98, v0 neg_lo:[1,1,0]
	v_dot4_i32_iu8 v1, v96, v5, v1 neg_lo:[1,1,0]
	;; [unrolled: 1-line block ×19, first 2 shown]
	s_waitcnt vmcnt(3)
	v_dot4_i32_iu8 v24, v9, v8, v42 neg_lo:[1,1,0]
	v_dot4_i32_iu8 v25, v9, v29, v43 neg_lo:[1,1,0]
	;; [unrolled: 1-line block ×4, first 2 shown]
	s_waitcnt vmcnt(0)
	v_add_co_u32 v28, vcc_lo, v32, v34
	v_dot4_i32_iu8 v16, v10, v98, v16 neg_lo:[1,1,0]
	v_dot4_i32_iu8 v42, v10, v8, v46 neg_lo:[1,1,0]
	;; [unrolled: 1-line block ×9, first 2 shown]
	v_add_co_ci_u32_e32 v29, vcc_lo, 0, v33, vcc_lo
	s_clause 0x7
	scratch_store_b128 off, v[0:3], off offset:272
	scratch_store_b128 off, v[20:23], off offset:288
	scratch_store_b128 off, v[12:15], off offset:304
	scratch_store_b128 off, v[24:27], off offset:320
	scratch_store_b128 off, v[16:19], off offset:336
	scratch_store_b128 off, v[42:45], off offset:352
	scratch_store_b128 off, v[4:7], off offset:368
	scratch_store_b128 off, v[8:11], off offset:384
	s_clause 0x1
	flat_store_b128 v[28:29], v[54:57]
	flat_store_b128 v[28:29], v[58:61] offset:512
	scratch_load_b64 v[8:9], off, off offset:448
	v_lshlrev_b16 v0, 8, v63
	v_and_b32_e32 v1, 0xff, v62
	v_lshlrev_b16 v2, 8, v65
	v_and_b32_e32 v3, 0xff, v64
	v_and_b32_e32 v4, 0xffff, v81
	v_lshlrev_b32_e32 v5, 16, v86
	v_and_b32_e32 v10, 0xffff, v83
	v_lshlrev_b32_e32 v11, 16, v84
	v_lshlrev_b16 v12, 8, v70
	v_and_b32_e32 v13, 0xff, v72
	v_lshlrev_b16 v14, 8, v66
	v_and_b32_e32 v15, 0xff, v68
	v_or_b32_e32 v0, v1, v0
	v_or_b32_e32 v22, v3, v2
	;; [unrolled: 1-line block ×6, first 2 shown]
	v_and_b32_e32 v6, 0xffff, v82
	v_lshlrev_b32_e32 v7, 16, v85
	v_and_b32_e32 v0, 0xffff, v0
	v_lshlrev_b32_e32 v11, 16, v22
	;; [unrolled: 2-line block ×6, first 2 shown]
	v_or_b32_e32 v2, v6, v7
	v_or_b32_e32 v0, v0, v11
	;; [unrolled: 1-line block ×6, first 2 shown]
	s_waitcnt vmcnt(0)
	v_add_co_u32 v10, vcc_lo, v8, v34
	v_add_co_ci_u32_e32 v11, vcc_lo, 0, v9, vcc_lo
	s_clause 0x1
	flat_store_b128 v[10:11], v[0:3]
	flat_store_b128 v[10:11], v[4:7] offset:512
	s_waitcnt lgkmcnt(0)
	s_waitcnt_vscnt null, 0x0
	s_barrier
	s_clause 0x1
	scratch_load_b32 v0, off, off offset:80
	scratch_load_b32 v4, off, off offset:112
	s_clause 0x3
	scratch_store_b128 off, v[38:41], off
	scratch_store_b128 off, v[38:41], off offset:16
	scratch_store_b128 off, v[38:41], off offset:32
	;; [unrolled: 1-line block ×3, first 2 shown]
	s_waitcnt vmcnt(1)
	v_ashrrev_i32_e32 v1, 31, v0
	v_add_co_u32 v32, vcc_lo, v32, v0
	s_waitcnt vmcnt(0)
	v_ashrrev_i32_e32 v5, 31, v4
	s_delay_alu instid0(VALU_DEP_3) | instskip(SKIP_1) | instid1(VALU_DEP_3)
	v_add_co_ci_u32_e32 v33, vcc_lo, v33, v1, vcc_lo
	v_add_co_u32 v8, vcc_lo, v8, v4
	v_add_co_ci_u32_e32 v9, vcc_lo, v9, v5, vcc_lo
	flat_load_b128 v[0:3], v[32:33]
	s_waitcnt vmcnt(0) lgkmcnt(0)
	scratch_store_b128 off, v[0:3], off
	flat_load_b128 v[4:7], v[8:9]
	s_waitcnt vmcnt(0) lgkmcnt(0)
	scratch_store_b128 off, v[4:7], off offset:32
	flat_load_b128 v[8:11], v[8:9] offset:256
	s_clause 0x7
	scratch_load_b128 v[12:15], off, off offset:144
	scratch_load_b128 v[16:19], off, off offset:176
	scratch_load_b128 v[20:23], off, off offset:208
	scratch_load_b128 v[24:27], off, off offset:240
	scratch_load_b128 v[28:31], off, off offset:160
	scratch_load_b128 v[38:41], off, off offset:192
	scratch_load_b128 v[42:45], off, off offset:224
	scratch_load_b128 v[46:49], off, off offset:256
	s_waitcnt vmcnt(8) lgkmcnt(0)
	scratch_store_b128 off, v[8:11], off offset:48
	flat_load_b128 v[50:53], v[32:33] offset:256
	s_waitcnt vmcnt(8)
	v_dot4_i32_iu8 v12, v0, v4, v12 neg_lo:[1,1,0]
	v_dot4_i32_iu8 v13, v0, v5, v13 neg_lo:[1,1,0]
	v_dot4_i32_iu8 v14, v0, v6, v14 neg_lo:[1,1,0]
	v_dot4_i32_iu8 v15, v0, v7, v15 neg_lo:[1,1,0]
	s_waitcnt vmcnt(7)
	v_dot4_i32_iu8 v16, v1, v4, v16 neg_lo:[1,1,0]
	v_dot4_i32_iu8 v17, v1, v5, v17 neg_lo:[1,1,0]
	v_dot4_i32_iu8 v18, v1, v6, v18 neg_lo:[1,1,0]
	v_dot4_i32_iu8 v19, v1, v7, v19 neg_lo:[1,1,0]
	;; [unrolled: 5-line block ×8, first 2 shown]
	v_dual_mov_b32 v11, s21 :: v_dual_mov_b32 v8, s7
	v_dual_mov_b32 v9, s19 :: v_dual_mov_b32 v10, s13
	s_clause 0x7
	scratch_store_b128 off, v[12:15], off offset:144
	scratch_store_b128 off, v[24:27], off offset:160
	;; [unrolled: 1-line block ×8, first 2 shown]
	s_waitcnt vmcnt(0) lgkmcnt(0)
	scratch_store_b128 off, v[50:53], off offset:16
	v_dual_mov_b32 v0, s14 :: v_dual_mov_b32 v1, s15
	v_dual_mov_b32 v2, s18 :: v_dual_mov_b32 v3, s23
	;; [unrolled: 1-line block ×4, first 2 shown]
	s_swappc_b64 s[30:31], s[16:17]
	s_clause 0x15
	scratch_load_b32 v32, off, off offset:16
	scratch_load_b32 v33, off, off offset:32
	scratch_load_b128 v[0:3], off, off offset:272
	scratch_load_b128 v[4:7], off, off offset:32
	;; [unrolled: 1-line block ×6, first 2 shown]
	scratch_load_b32 v4, off, off offset:48
	scratch_load_b128 v[24:27], off, off offset:288
	scratch_load_b128 v[28:31], off, off offset:48
	;; [unrolled: 1-line block ×13, first 2 shown]
	s_waitcnt vmcnt(11)
	v_add_nc_u32_e32 v28, s22, v35
	s_lshl_b32 s0, s28, 6
	s_mov_b32 s7, 0x31004000
	s_delay_alu instid0(VALU_DEP_1) | instskip(NEXT) | instid1(VALU_DEP_1)
	v_mul_lo_u32 v28, v28, s28
	v_add3_u32 v28, s20, v37, v28
	v_dot4_i32_iu8 v24, v32, v4, v24 neg_lo:[1,1,0]
	v_dot4_i32_iu8 v25, v32, v29, v25 neg_lo:[1,1,0]
	;; [unrolled: 1-line block ×4, first 2 shown]
	s_waitcnt vmcnt(8)
	v_dot4_i32_iu8 v46, v11, v4, v46 neg_lo:[1,1,0]
	v_dot4_i32_iu8 v47, v11, v29, v47 neg_lo:[1,1,0]
	;; [unrolled: 1-line block ×23, first 2 shown]
	s_clause 0x1
	scratch_store_b128 off, v[20:23], off offset:368
	scratch_store_b128 off, v[46:49], off offset:384
	v_dot4_i32_iu8 v39, v9, v29, v39 neg_lo:[1,1,0]
	v_dot4_i32_iu8 v40, v9, v30, v40 neg_lo:[1,1,0]
	;; [unrolled: 1-line block ×5, first 2 shown]
	s_clause 0x1
	scratch_load_b128 v[20:23], off, off offset:368
	scratch_load_b128 v[46:49], off, off offset:384
	s_clause 0x1
	scratch_store_b128 off, v[16:19], off offset:336
	scratch_store_b128 off, v[42:45], off offset:352
	s_clause 0x1
	scratch_load_b128 v[16:19], off, off offset:352
	scratch_load_b128 v[8:11], off, off offset:336
	s_clause 0x1
	scratch_store_b128 off, v[12:15], off offset:304
	scratch_store_b128 off, v[38:41], off offset:320
	s_clause 0x1
	scratch_load_b128 v[12:15], off, off offset:304
	scratch_load_b128 v[4:7], off, off offset:320
	s_clause 0x1
	scratch_store_b128 off, v[24:27], off offset:288
	scratch_store_b128 off, v[0:3], off offset:272
	s_clause 0x1
	scratch_load_b128 v[24:27], off, off offset:288
	scratch_load_b128 v[0:3], off, off offset:272
	v_add_nc_u32_e32 v29, s28, v28
	s_waitcnt vmcnt(15)
	v_lshlrev_b32_e32 v40, 8, v51
	v_lshlrev_b32_e32 v41, 16, v52
	s_waitcnt vmcnt(14)
	v_lshlrev_b32_e32 v43, 8, v55
	v_lshlrev_b32_e32 v44, 16, v56
	v_add_nc_u32_e32 v30, s28, v29
	s_waitcnt vmcnt(13)
	v_lshlrev_b32_e32 v51, 8, v59
	v_lshlrev_b32_e32 v52, 16, v60
	s_waitcnt vmcnt(12)
	v_lshlrev_b32_e32 v55, 8, v63
	v_lshlrev_b32_e32 v56, 16, v64
	v_add_nc_u32_e32 v31, 64, v30
	s_waitcnt vmcnt(11)
	v_lshlrev_b32_e32 v59, 8, v67
	v_lshlrev_b32_e32 v60, 16, v68
	v_lshlrev_b32_e32 v42, 24, v53
	s_waitcnt vmcnt(10)
	v_lshlrev_b32_e32 v63, 8, v71
	v_lshlrev_b32_e32 v64, 16, v72
	s_waitcnt vmcnt(9)
	v_lshlrev_b32_e32 v67, 8, v75
	v_lshlrev_b32_e32 v68, 16, v76
	;; [unrolled: 3-line block ×3, first 2 shown]
	v_perm_b32 v40, v40, v50, 0xc0c0500
	v_and_b32_e32 v41, 0xff0000, v41
	v_lshlrev_b32_e32 v45, 24, v57
	v_perm_b32 v43, v43, v54, 0xc0c0500
	v_and_b32_e32 v44, 0xff0000, v44
	v_lshlrev_b32_e32 v53, 24, v61
	;; [unrolled: 3-line block ×3, first 2 shown]
	v_perm_b32 v52, v55, v62, 0xc0c0500
	v_and_b32_e32 v54, 0xff0000, v56
	v_add_nc_u32_e32 v32, s0, v31
	v_lshlrev_b32_e32 v61, 24, v69
	v_perm_b32 v55, v59, v66, 0xc0c0500
	v_and_b32_e32 v56, 0xff0000, v60
	v_lshlrev_b32_e32 v65, 24, v73
	v_lshlrev_b32_e32 v69, 24, v77
	;; [unrolled: 1-line block ×3, first 2 shown]
	v_perm_b32 v58, v63, v70, 0xc0c0500
	v_and_b32_e32 v59, 0xff0000, v64
	v_perm_b32 v60, v67, v74, 0xc0c0500
	v_and_b32_e32 v62, 0xff0000, v68
	;; [unrolled: 2-line block ×3, first 2 shown]
	v_or3_b32 v40, v40, v41, v42
	v_or3_b32 v41, v43, v44, v45
	v_add_nc_u32_e32 v37, 64, v29
	v_or3_b32 v42, v50, v51, v53
	v_or3_b32 v43, v52, v54, v57
	v_subrev_nc_u32_e32 v33, 64, v32
	v_or3_b32 v44, v55, v56, v61
	v_add_nc_u32_e32 v35, s28, v30
	v_add_nc_u32_e32 v31, s28, v31
	v_or3_b32 v45, v58, v59, v65
	v_or3_b32 v50, v60, v62, v69
	;; [unrolled: 1-line block ×3, first 2 shown]
	s_clause 0x7
	buffer_store_b32 v40, v28, s[4:7], 0 offen
	buffer_store_b32 v41, v28, s[4:7], 0 offen offset:64
	buffer_store_b32 v42, v37, s[4:7], 0 offen
	buffer_store_b32 v43, v29, s[4:7], 0 offen
	;; [unrolled: 1-line block ×3, first 2 shown]
	buffer_store_b32 v45, v30, s[4:7], 0 offen offset:64
	buffer_store_b32 v50, v31, s[4:7], 0 offen
	buffer_store_b32 v51, v35, s[4:7], 0 offen
	v_subrev_nc_u32_e32 v34, s28, v33
	v_add_nc_u32_e32 v38, s0, v35
	s_delay_alu instid0(VALU_DEP_2) | instskip(NEXT) | instid1(VALU_DEP_1)
	v_subrev_nc_u32_e32 v36, s28, v34
	v_add_nc_u32_e32 v39, 64, v36
	s_waitcnt vmcnt(7)
	v_lshlrev_b32_e32 v21, 8, v21
	v_lshlrev_b32_e32 v22, 16, v22
	s_waitcnt vmcnt(6)
	v_lshlrev_b32_e32 v28, 8, v47
	v_lshlrev_b32_e32 v29, 16, v48
	;; [unrolled: 3-line block ×5, first 2 shown]
	v_lshlrev_b32_e32 v23, 24, v23
	s_waitcnt vmcnt(2)
	v_lshlrev_b32_e32 v5, 8, v5
	v_lshlrev_b32_e32 v6, 16, v6
	s_waitcnt vmcnt(1)
	v_lshlrev_b32_e32 v25, 8, v25
	;; [unrolled: 3-line block ×3, first 2 shown]
	v_lshlrev_b32_e32 v2, 16, v2
	v_perm_b32 v20, v21, v20, 0xc0c0500
	v_and_b32_e32 v21, 0xff0000, v22
	v_lshlrev_b32_e32 v30, 24, v49
	v_perm_b32 v22, v28, v46, 0xc0c0500
	v_and_b32_e32 v28, 0xff0000, v29
	;; [unrolled: 3-line block ×5, first 2 shown]
	v_lshlrev_b32_e32 v7, 24, v7
	v_lshlrev_b32_e32 v27, 24, v27
	;; [unrolled: 1-line block ×3, first 2 shown]
	v_perm_b32 v4, v5, v4, 0xc0c0500
	v_and_b32_e32 v5, 0xff0000, v6
	v_perm_b32 v6, v25, v24, 0xc0c0500
	v_and_b32_e32 v13, 0xff0000, v26
	;; [unrolled: 2-line block ×3, first 2 shown]
	v_or3_b32 v2, v20, v21, v23
	v_or3_b32 v14, v22, v28, v30
	;; [unrolled: 1-line block ×8, first 2 shown]
	s_clause 0x7
	buffer_store_b32 v2, v38, s[4:7], 0 offen
	buffer_store_b32 v14, v38, s[4:7], 0 offen offset:64
	buffer_store_b32 v16, v32, s[4:7], 0 offen
	buffer_store_b32 v8, v33, s[4:7], 0 offen
	;; [unrolled: 1-line block ×3, first 2 shown]
	buffer_store_b32 v4, v34, s[4:7], 0 offen offset:64
	buffer_store_b32 v5, v39, s[4:7], 0 offen
	buffer_store_b32 v0, v36, s[4:7], 0 offen
	s_endpgm
	.section	.rodata,"a",@progbits
	.p2align	6, 0x0
	.amdhsa_kernel _ZN2ck19kernel_gemm_dl_v1r3INS_28GridwiseGemmDl_km_kn_mn_v1r3ILi256EaiaLNS_25InMemoryDataOperationEnumE0ENS_16TensorDescriptorINS_5TupleIJNS_5EmbedINS4_IJiiEEENS4_IJNS_17integral_constantIiLi1EEEiEEELb0EEENS_7UnMergeINS4_IJiNS7_IiLi4EEEEEELb0EEENS_11PassThroughIiEEEEENS4_IJNS_8SequenceIJLi0EEEENSI_IJLi2EEEENSI_IJLi1EEEEEEENS4_IJNSI_IJLi1ELi2EEEENSI_IJLi3ELi4EEEENSI_IJLi5EEEEEEENSI_IJLi3ELi5ELi4EEEElEENS3_INS4_IJNS5_IS6_NS4_IJiS8_EEELb0EEESE_SG_EEENS4_IJSJ_SL_SK_EEESQ_SR_lEENS3_INS4_IJSU_SG_SG_EEESW_NS4_IJSN_NSI_IJLi3EEEENSI_IJLi4EEEEEEESO_lEELi128ELi128ELi16ELi4ELi4ELi4ELi1ENSI_IJLi8ELi2EEEES13_NSI_IJLi2ELi1ELi4ELi4EEEENSI_IJLi8ELi1ELi32ELi1EEEENSI_IJLi0ELi3ELi1ELi2EEEES16_NSI_IJLi1ELi1ELi4ELi1EEEES16_NSI_IJLi1ELi1ELi4ELi4EEEES14_S15_S16_S16_S17_S16_S18_NSI_IJLi0ELi1ELi2ELi3ELi4ELi5EEEELi5ELi4EEEaaNS3_INS4_IJSA_SE_SG_SG_NSB_INS4_IJiNS7_IiLi128EEEEEELb0EEENSF_ISC_EEEEENS4_IJSJ_SK_SL_SZ_SP_S10_EEENS4_IJSN_SO_SP_NSI_IJLi6EEEENSI_IJLi7ELi8EEEENSI_IJLi9EEEEEEENSI_IJLi6ELi7ELi8ELi9EEEElEENS3_INS4_IJSU_SE_SG_SG_S1D_S1E_EEENS4_IJSJ_SL_SK_SZ_SP_S10_EEES1K_S1L_lEENS3_INS4_IJSU_SG_SG_NSB_INS4_IJiNS7_IiLi2EEENS7_IiLi64EEEEEELb0EEES1T_EEENS4_IJSJ_SL_SK_SZ_S10_EEENS4_IJSN_SZ_S10_NSI_IJLi5ELi6ELi7EEEENSI_IJLi8ELi9ELi10EEEEEEENSI_IJLi5ELi6ELi7ELi8ELi9ELi10EEEElEENS_31BlockToCTileMap_M00_N00_M01_N01ILi128ELi128ES12_Lb0EEELb1ELb1EEEvPKT0_S25_PT1_T2_T3_T4_T5_
		.amdhsa_group_segment_fixed_size 32768
		.amdhsa_private_segment_fixed_size 480
		.amdhsa_kernarg_size 328
		.amdhsa_user_sgpr_count 15
		.amdhsa_user_sgpr_dispatch_ptr 0
		.amdhsa_user_sgpr_queue_ptr 0
		.amdhsa_user_sgpr_kernarg_segment_ptr 1
		.amdhsa_user_sgpr_dispatch_id 0
		.amdhsa_user_sgpr_private_segment_size 0
		.amdhsa_wavefront_size32 1
		.amdhsa_uses_dynamic_stack 0
		.amdhsa_enable_private_segment 1
		.amdhsa_system_sgpr_workgroup_id_x 1
		.amdhsa_system_sgpr_workgroup_id_y 0
		.amdhsa_system_sgpr_workgroup_id_z 0
		.amdhsa_system_sgpr_workgroup_info 0
		.amdhsa_system_vgpr_workitem_id 0
		.amdhsa_next_free_vgpr 153
		.amdhsa_next_free_sgpr 43
		.amdhsa_reserve_vcc 1
		.amdhsa_float_round_mode_32 0
		.amdhsa_float_round_mode_16_64 0
		.amdhsa_float_denorm_mode_32 3
		.amdhsa_float_denorm_mode_16_64 3
		.amdhsa_dx10_clamp 1
		.amdhsa_ieee_mode 1
		.amdhsa_fp16_overflow 0
		.amdhsa_workgroup_processor_mode 1
		.amdhsa_memory_ordered 1
		.amdhsa_forward_progress 0
		.amdhsa_shared_vgpr_count 0
		.amdhsa_exception_fp_ieee_invalid_op 0
		.amdhsa_exception_fp_denorm_src 0
		.amdhsa_exception_fp_ieee_div_zero 0
		.amdhsa_exception_fp_ieee_overflow 0
		.amdhsa_exception_fp_ieee_underflow 0
		.amdhsa_exception_fp_ieee_inexact 0
		.amdhsa_exception_int_div_zero 0
	.end_amdhsa_kernel
	.section	.text._ZN2ck19kernel_gemm_dl_v1r3INS_28GridwiseGemmDl_km_kn_mn_v1r3ILi256EaiaLNS_25InMemoryDataOperationEnumE0ENS_16TensorDescriptorINS_5TupleIJNS_5EmbedINS4_IJiiEEENS4_IJNS_17integral_constantIiLi1EEEiEEELb0EEENS_7UnMergeINS4_IJiNS7_IiLi4EEEEEELb0EEENS_11PassThroughIiEEEEENS4_IJNS_8SequenceIJLi0EEEENSI_IJLi2EEEENSI_IJLi1EEEEEEENS4_IJNSI_IJLi1ELi2EEEENSI_IJLi3ELi4EEEENSI_IJLi5EEEEEEENSI_IJLi3ELi5ELi4EEEElEENS3_INS4_IJNS5_IS6_NS4_IJiS8_EEELb0EEESE_SG_EEENS4_IJSJ_SL_SK_EEESQ_SR_lEENS3_INS4_IJSU_SG_SG_EEESW_NS4_IJSN_NSI_IJLi3EEEENSI_IJLi4EEEEEEESO_lEELi128ELi128ELi16ELi4ELi4ELi4ELi1ENSI_IJLi8ELi2EEEES13_NSI_IJLi2ELi1ELi4ELi4EEEENSI_IJLi8ELi1ELi32ELi1EEEENSI_IJLi0ELi3ELi1ELi2EEEES16_NSI_IJLi1ELi1ELi4ELi1EEEES16_NSI_IJLi1ELi1ELi4ELi4EEEES14_S15_S16_S16_S17_S16_S18_NSI_IJLi0ELi1ELi2ELi3ELi4ELi5EEEELi5ELi4EEEaaNS3_INS4_IJSA_SE_SG_SG_NSB_INS4_IJiNS7_IiLi128EEEEEELb0EEENSF_ISC_EEEEENS4_IJSJ_SK_SL_SZ_SP_S10_EEENS4_IJSN_SO_SP_NSI_IJLi6EEEENSI_IJLi7ELi8EEEENSI_IJLi9EEEEEEENSI_IJLi6ELi7ELi8ELi9EEEElEENS3_INS4_IJSU_SE_SG_SG_S1D_S1E_EEENS4_IJSJ_SL_SK_SZ_SP_S10_EEES1K_S1L_lEENS3_INS4_IJSU_SG_SG_NSB_INS4_IJiNS7_IiLi2EEENS7_IiLi64EEEEEELb0EEES1T_EEENS4_IJSJ_SL_SK_SZ_S10_EEENS4_IJSN_SZ_S10_NSI_IJLi5ELi6ELi7EEEENSI_IJLi8ELi9ELi10EEEEEEENSI_IJLi5ELi6ELi7ELi8ELi9ELi10EEEElEENS_31BlockToCTileMap_M00_N00_M01_N01ILi128ELi128ES12_Lb0EEELb1ELb1EEEvPKT0_S25_PT1_T2_T3_T4_T5_,"axG",@progbits,_ZN2ck19kernel_gemm_dl_v1r3INS_28GridwiseGemmDl_km_kn_mn_v1r3ILi256EaiaLNS_25InMemoryDataOperationEnumE0ENS_16TensorDescriptorINS_5TupleIJNS_5EmbedINS4_IJiiEEENS4_IJNS_17integral_constantIiLi1EEEiEEELb0EEENS_7UnMergeINS4_IJiNS7_IiLi4EEEEEELb0EEENS_11PassThroughIiEEEEENS4_IJNS_8SequenceIJLi0EEEENSI_IJLi2EEEENSI_IJLi1EEEEEEENS4_IJNSI_IJLi1ELi2EEEENSI_IJLi3ELi4EEEENSI_IJLi5EEEEEEENSI_IJLi3ELi5ELi4EEEElEENS3_INS4_IJNS5_IS6_NS4_IJiS8_EEELb0EEESE_SG_EEENS4_IJSJ_SL_SK_EEESQ_SR_lEENS3_INS4_IJSU_SG_SG_EEESW_NS4_IJSN_NSI_IJLi3EEEENSI_IJLi4EEEEEEESO_lEELi128ELi128ELi16ELi4ELi4ELi4ELi1ENSI_IJLi8ELi2EEEES13_NSI_IJLi2ELi1ELi4ELi4EEEENSI_IJLi8ELi1ELi32ELi1EEEENSI_IJLi0ELi3ELi1ELi2EEEES16_NSI_IJLi1ELi1ELi4ELi1EEEES16_NSI_IJLi1ELi1ELi4ELi4EEEES14_S15_S16_S16_S17_S16_S18_NSI_IJLi0ELi1ELi2ELi3ELi4ELi5EEEELi5ELi4EEEaaNS3_INS4_IJSA_SE_SG_SG_NSB_INS4_IJiNS7_IiLi128EEEEEELb0EEENSF_ISC_EEEEENS4_IJSJ_SK_SL_SZ_SP_S10_EEENS4_IJSN_SO_SP_NSI_IJLi6EEEENSI_IJLi7ELi8EEEENSI_IJLi9EEEEEEENSI_IJLi6ELi7ELi8ELi9EEEElEENS3_INS4_IJSU_SE_SG_SG_S1D_S1E_EEENS4_IJSJ_SL_SK_SZ_SP_S10_EEES1K_S1L_lEENS3_INS4_IJSU_SG_SG_NSB_INS4_IJiNS7_IiLi2EEENS7_IiLi64EEEEEELb0EEES1T_EEENS4_IJSJ_SL_SK_SZ_S10_EEENS4_IJSN_SZ_S10_NSI_IJLi5ELi6ELi7EEEENSI_IJLi8ELi9ELi10EEEEEEENSI_IJLi5ELi6ELi7ELi8ELi9ELi10EEEElEENS_31BlockToCTileMap_M00_N00_M01_N01ILi128ELi128ES12_Lb0EEELb1ELb1EEEvPKT0_S25_PT1_T2_T3_T4_T5_,comdat
.Lfunc_end2:
	.size	_ZN2ck19kernel_gemm_dl_v1r3INS_28GridwiseGemmDl_km_kn_mn_v1r3ILi256EaiaLNS_25InMemoryDataOperationEnumE0ENS_16TensorDescriptorINS_5TupleIJNS_5EmbedINS4_IJiiEEENS4_IJNS_17integral_constantIiLi1EEEiEEELb0EEENS_7UnMergeINS4_IJiNS7_IiLi4EEEEEELb0EEENS_11PassThroughIiEEEEENS4_IJNS_8SequenceIJLi0EEEENSI_IJLi2EEEENSI_IJLi1EEEEEEENS4_IJNSI_IJLi1ELi2EEEENSI_IJLi3ELi4EEEENSI_IJLi5EEEEEEENSI_IJLi3ELi5ELi4EEEElEENS3_INS4_IJNS5_IS6_NS4_IJiS8_EEELb0EEESE_SG_EEENS4_IJSJ_SL_SK_EEESQ_SR_lEENS3_INS4_IJSU_SG_SG_EEESW_NS4_IJSN_NSI_IJLi3EEEENSI_IJLi4EEEEEEESO_lEELi128ELi128ELi16ELi4ELi4ELi4ELi1ENSI_IJLi8ELi2EEEES13_NSI_IJLi2ELi1ELi4ELi4EEEENSI_IJLi8ELi1ELi32ELi1EEEENSI_IJLi0ELi3ELi1ELi2EEEES16_NSI_IJLi1ELi1ELi4ELi1EEEES16_NSI_IJLi1ELi1ELi4ELi4EEEES14_S15_S16_S16_S17_S16_S18_NSI_IJLi0ELi1ELi2ELi3ELi4ELi5EEEELi5ELi4EEEaaNS3_INS4_IJSA_SE_SG_SG_NSB_INS4_IJiNS7_IiLi128EEEEEELb0EEENSF_ISC_EEEEENS4_IJSJ_SK_SL_SZ_SP_S10_EEENS4_IJSN_SO_SP_NSI_IJLi6EEEENSI_IJLi7ELi8EEEENSI_IJLi9EEEEEEENSI_IJLi6ELi7ELi8ELi9EEEElEENS3_INS4_IJSU_SE_SG_SG_S1D_S1E_EEENS4_IJSJ_SL_SK_SZ_SP_S10_EEES1K_S1L_lEENS3_INS4_IJSU_SG_SG_NSB_INS4_IJiNS7_IiLi2EEENS7_IiLi64EEEEEELb0EEES1T_EEENS4_IJSJ_SL_SK_SZ_S10_EEENS4_IJSN_SZ_S10_NSI_IJLi5ELi6ELi7EEEENSI_IJLi8ELi9ELi10EEEEEEENSI_IJLi5ELi6ELi7ELi8ELi9ELi10EEEElEENS_31BlockToCTileMap_M00_N00_M01_N01ILi128ELi128ES12_Lb0EEELb1ELb1EEEvPKT0_S25_PT1_T2_T3_T4_T5_, .Lfunc_end2-_ZN2ck19kernel_gemm_dl_v1r3INS_28GridwiseGemmDl_km_kn_mn_v1r3ILi256EaiaLNS_25InMemoryDataOperationEnumE0ENS_16TensorDescriptorINS_5TupleIJNS_5EmbedINS4_IJiiEEENS4_IJNS_17integral_constantIiLi1EEEiEEELb0EEENS_7UnMergeINS4_IJiNS7_IiLi4EEEEEELb0EEENS_11PassThroughIiEEEEENS4_IJNS_8SequenceIJLi0EEEENSI_IJLi2EEEENSI_IJLi1EEEEEEENS4_IJNSI_IJLi1ELi2EEEENSI_IJLi3ELi4EEEENSI_IJLi5EEEEEEENSI_IJLi3ELi5ELi4EEEElEENS3_INS4_IJNS5_IS6_NS4_IJiS8_EEELb0EEESE_SG_EEENS4_IJSJ_SL_SK_EEESQ_SR_lEENS3_INS4_IJSU_SG_SG_EEESW_NS4_IJSN_NSI_IJLi3EEEENSI_IJLi4EEEEEEESO_lEELi128ELi128ELi16ELi4ELi4ELi4ELi1ENSI_IJLi8ELi2EEEES13_NSI_IJLi2ELi1ELi4ELi4EEEENSI_IJLi8ELi1ELi32ELi1EEEENSI_IJLi0ELi3ELi1ELi2EEEES16_NSI_IJLi1ELi1ELi4ELi1EEEES16_NSI_IJLi1ELi1ELi4ELi4EEEES14_S15_S16_S16_S17_S16_S18_NSI_IJLi0ELi1ELi2ELi3ELi4ELi5EEEELi5ELi4EEEaaNS3_INS4_IJSA_SE_SG_SG_NSB_INS4_IJiNS7_IiLi128EEEEEELb0EEENSF_ISC_EEEEENS4_IJSJ_SK_SL_SZ_SP_S10_EEENS4_IJSN_SO_SP_NSI_IJLi6EEEENSI_IJLi7ELi8EEEENSI_IJLi9EEEEEEENSI_IJLi6ELi7ELi8ELi9EEEElEENS3_INS4_IJSU_SE_SG_SG_S1D_S1E_EEENS4_IJSJ_SL_SK_SZ_SP_S10_EEES1K_S1L_lEENS3_INS4_IJSU_SG_SG_NSB_INS4_IJiNS7_IiLi2EEENS7_IiLi64EEEEEELb0EEES1T_EEENS4_IJSJ_SL_SK_SZ_S10_EEENS4_IJSN_SZ_S10_NSI_IJLi5ELi6ELi7EEEENSI_IJLi8ELi9ELi10EEEEEEENSI_IJLi5ELi6ELi7ELi8ELi9ELi10EEEElEENS_31BlockToCTileMap_M00_N00_M01_N01ILi128ELi128ES12_Lb0EEELb1ELb1EEEvPKT0_S25_PT1_T2_T3_T4_T5_
                                        ; -- End function
	.section	.AMDGPU.csdata,"",@progbits
; Kernel info:
; codeLenInByte = 12088
; NumSgprs: 45
; NumVgprs: 153
; ScratchSize: 480
; MemoryBound: 0
; FloatMode: 240
; IeeeMode: 1
; LDSByteSize: 32768 bytes/workgroup (compile time only)
; SGPRBlocks: 5
; VGPRBlocks: 19
; NumSGPRsForWavesPerEU: 45
; NumVGPRsForWavesPerEU: 153
; Occupancy: 8
; WaveLimiterHint : 1
; COMPUTE_PGM_RSRC2:SCRATCH_EN: 1
; COMPUTE_PGM_RSRC2:USER_SGPR: 15
; COMPUTE_PGM_RSRC2:TRAP_HANDLER: 0
; COMPUTE_PGM_RSRC2:TGID_X_EN: 1
; COMPUTE_PGM_RSRC2:TGID_Y_EN: 0
; COMPUTE_PGM_RSRC2:TGID_Z_EN: 0
; COMPUTE_PGM_RSRC2:TIDIG_COMP_CNT: 0
	.section	.text._ZN2ck19kernel_gemm_dl_v1r3INS_28GridwiseGemmDl_km_kn_mn_v1r3ILi256EaiaLNS_25InMemoryDataOperationEnumE0ENS_16TensorDescriptorINS_5TupleIJNS_5EmbedINS4_IJiiEEENS4_IJNS_17integral_constantIiLi1EEEiEEELb0EEENS_7UnMergeINS4_IJiNS7_IiLi4EEEEEELb0EEENS_11PassThroughIiEEEEENS4_IJNS_8SequenceIJLi0EEEENSI_IJLi2EEEENSI_IJLi1EEEEEEENS4_IJNSI_IJLi1ELi2EEEENSI_IJLi3ELi4EEEENSI_IJLi5EEEEEEENSI_IJLi3ELi5ELi4EEEElEENS3_INS4_IJNS5_IS6_NS4_IJiS8_EEELb0EEESE_SG_EEENS4_IJSJ_SL_SK_EEESQ_SR_lEENS3_INS4_IJSU_SG_SG_EEESW_NS4_IJSN_NSI_IJLi3EEEENSI_IJLi4EEEEEEESO_lEELi128ELi128ELi16ELi4ELi4ELi4ELi1ENSI_IJLi8ELi2EEEES13_NSI_IJLi2ELi1ELi4ELi4EEEENSI_IJLi8ELi1ELi32ELi1EEEENSI_IJLi0ELi3ELi1ELi2EEEES16_NSI_IJLi1ELi1ELi4ELi1EEEES16_NSI_IJLi1ELi1ELi4ELi4EEEES14_S15_S16_S16_S17_S16_S18_NSI_IJLi0ELi1ELi2ELi3ELi4ELi5EEEELi5ELi4EEEaaNS3_INS4_IJSA_SE_SG_SG_NSB_INS4_IJiNS7_IiLi128EEEEEELb0EEENSF_ISC_EEEEENS4_IJSJ_SK_SL_SZ_SP_S10_EEENS4_IJSN_SO_SP_NSI_IJLi6EEEENSI_IJLi7ELi8EEEENSI_IJLi9EEEEEEENSI_IJLi6ELi7ELi8ELi9EEEElEENS3_INS4_IJSU_SE_SG_SG_S1D_S1E_EEENS4_IJSJ_SL_SK_SZ_SP_S10_EEES1K_S1L_lEENS3_INS4_IJSU_SG_SG_NSB_INS4_IJiNS7_IiLi2EEENS7_IiLi64EEEEEELb0EEES1T_EEENS4_IJSJ_SL_SK_SZ_S10_EEENS4_IJSN_SZ_S10_NSI_IJLi5ELi6ELi7EEEENSI_IJLi8ELi9ELi10EEEEEEENSI_IJLi5ELi6ELi7ELi8ELi9ELi10EEEElEENS_31BlockToCTileMap_M00_N00_M01_N01ILi128ELi128ES12_Lb0EEELb1ELb0EEEvPKT0_S25_PT1_T2_T3_T4_T5_,"axG",@progbits,_ZN2ck19kernel_gemm_dl_v1r3INS_28GridwiseGemmDl_km_kn_mn_v1r3ILi256EaiaLNS_25InMemoryDataOperationEnumE0ENS_16TensorDescriptorINS_5TupleIJNS_5EmbedINS4_IJiiEEENS4_IJNS_17integral_constantIiLi1EEEiEEELb0EEENS_7UnMergeINS4_IJiNS7_IiLi4EEEEEELb0EEENS_11PassThroughIiEEEEENS4_IJNS_8SequenceIJLi0EEEENSI_IJLi2EEEENSI_IJLi1EEEEEEENS4_IJNSI_IJLi1ELi2EEEENSI_IJLi3ELi4EEEENSI_IJLi5EEEEEEENSI_IJLi3ELi5ELi4EEEElEENS3_INS4_IJNS5_IS6_NS4_IJiS8_EEELb0EEESE_SG_EEENS4_IJSJ_SL_SK_EEESQ_SR_lEENS3_INS4_IJSU_SG_SG_EEESW_NS4_IJSN_NSI_IJLi3EEEENSI_IJLi4EEEEEEESO_lEELi128ELi128ELi16ELi4ELi4ELi4ELi1ENSI_IJLi8ELi2EEEES13_NSI_IJLi2ELi1ELi4ELi4EEEENSI_IJLi8ELi1ELi32ELi1EEEENSI_IJLi0ELi3ELi1ELi2EEEES16_NSI_IJLi1ELi1ELi4ELi1EEEES16_NSI_IJLi1ELi1ELi4ELi4EEEES14_S15_S16_S16_S17_S16_S18_NSI_IJLi0ELi1ELi2ELi3ELi4ELi5EEEELi5ELi4EEEaaNS3_INS4_IJSA_SE_SG_SG_NSB_INS4_IJiNS7_IiLi128EEEEEELb0EEENSF_ISC_EEEEENS4_IJSJ_SK_SL_SZ_SP_S10_EEENS4_IJSN_SO_SP_NSI_IJLi6EEEENSI_IJLi7ELi8EEEENSI_IJLi9EEEEEEENSI_IJLi6ELi7ELi8ELi9EEEElEENS3_INS4_IJSU_SE_SG_SG_S1D_S1E_EEENS4_IJSJ_SL_SK_SZ_SP_S10_EEES1K_S1L_lEENS3_INS4_IJSU_SG_SG_NSB_INS4_IJiNS7_IiLi2EEENS7_IiLi64EEEEEELb0EEES1T_EEENS4_IJSJ_SL_SK_SZ_S10_EEENS4_IJSN_SZ_S10_NSI_IJLi5ELi6ELi7EEEENSI_IJLi8ELi9ELi10EEEEEEENSI_IJLi5ELi6ELi7ELi8ELi9ELi10EEEElEENS_31BlockToCTileMap_M00_N00_M01_N01ILi128ELi128ES12_Lb0EEELb1ELb0EEEvPKT0_S25_PT1_T2_T3_T4_T5_,comdat
	.protected	_ZN2ck19kernel_gemm_dl_v1r3INS_28GridwiseGemmDl_km_kn_mn_v1r3ILi256EaiaLNS_25InMemoryDataOperationEnumE0ENS_16TensorDescriptorINS_5TupleIJNS_5EmbedINS4_IJiiEEENS4_IJNS_17integral_constantIiLi1EEEiEEELb0EEENS_7UnMergeINS4_IJiNS7_IiLi4EEEEEELb0EEENS_11PassThroughIiEEEEENS4_IJNS_8SequenceIJLi0EEEENSI_IJLi2EEEENSI_IJLi1EEEEEEENS4_IJNSI_IJLi1ELi2EEEENSI_IJLi3ELi4EEEENSI_IJLi5EEEEEEENSI_IJLi3ELi5ELi4EEEElEENS3_INS4_IJNS5_IS6_NS4_IJiS8_EEELb0EEESE_SG_EEENS4_IJSJ_SL_SK_EEESQ_SR_lEENS3_INS4_IJSU_SG_SG_EEESW_NS4_IJSN_NSI_IJLi3EEEENSI_IJLi4EEEEEEESO_lEELi128ELi128ELi16ELi4ELi4ELi4ELi1ENSI_IJLi8ELi2EEEES13_NSI_IJLi2ELi1ELi4ELi4EEEENSI_IJLi8ELi1ELi32ELi1EEEENSI_IJLi0ELi3ELi1ELi2EEEES16_NSI_IJLi1ELi1ELi4ELi1EEEES16_NSI_IJLi1ELi1ELi4ELi4EEEES14_S15_S16_S16_S17_S16_S18_NSI_IJLi0ELi1ELi2ELi3ELi4ELi5EEEELi5ELi4EEEaaNS3_INS4_IJSA_SE_SG_SG_NSB_INS4_IJiNS7_IiLi128EEEEEELb0EEENSF_ISC_EEEEENS4_IJSJ_SK_SL_SZ_SP_S10_EEENS4_IJSN_SO_SP_NSI_IJLi6EEEENSI_IJLi7ELi8EEEENSI_IJLi9EEEEEEENSI_IJLi6ELi7ELi8ELi9EEEElEENS3_INS4_IJSU_SE_SG_SG_S1D_S1E_EEENS4_IJSJ_SL_SK_SZ_SP_S10_EEES1K_S1L_lEENS3_INS4_IJSU_SG_SG_NSB_INS4_IJiNS7_IiLi2EEENS7_IiLi64EEEEEELb0EEES1T_EEENS4_IJSJ_SL_SK_SZ_S10_EEENS4_IJSN_SZ_S10_NSI_IJLi5ELi6ELi7EEEENSI_IJLi8ELi9ELi10EEEEEEENSI_IJLi5ELi6ELi7ELi8ELi9ELi10EEEElEENS_31BlockToCTileMap_M00_N00_M01_N01ILi128ELi128ES12_Lb0EEELb1ELb0EEEvPKT0_S25_PT1_T2_T3_T4_T5_ ; -- Begin function _ZN2ck19kernel_gemm_dl_v1r3INS_28GridwiseGemmDl_km_kn_mn_v1r3ILi256EaiaLNS_25InMemoryDataOperationEnumE0ENS_16TensorDescriptorINS_5TupleIJNS_5EmbedINS4_IJiiEEENS4_IJNS_17integral_constantIiLi1EEEiEEELb0EEENS_7UnMergeINS4_IJiNS7_IiLi4EEEEEELb0EEENS_11PassThroughIiEEEEENS4_IJNS_8SequenceIJLi0EEEENSI_IJLi2EEEENSI_IJLi1EEEEEEENS4_IJNSI_IJLi1ELi2EEEENSI_IJLi3ELi4EEEENSI_IJLi5EEEEEEENSI_IJLi3ELi5ELi4EEEElEENS3_INS4_IJNS5_IS6_NS4_IJiS8_EEELb0EEESE_SG_EEENS4_IJSJ_SL_SK_EEESQ_SR_lEENS3_INS4_IJSU_SG_SG_EEESW_NS4_IJSN_NSI_IJLi3EEEENSI_IJLi4EEEEEEESO_lEELi128ELi128ELi16ELi4ELi4ELi4ELi1ENSI_IJLi8ELi2EEEES13_NSI_IJLi2ELi1ELi4ELi4EEEENSI_IJLi8ELi1ELi32ELi1EEEENSI_IJLi0ELi3ELi1ELi2EEEES16_NSI_IJLi1ELi1ELi4ELi1EEEES16_NSI_IJLi1ELi1ELi4ELi4EEEES14_S15_S16_S16_S17_S16_S18_NSI_IJLi0ELi1ELi2ELi3ELi4ELi5EEEELi5ELi4EEEaaNS3_INS4_IJSA_SE_SG_SG_NSB_INS4_IJiNS7_IiLi128EEEEEELb0EEENSF_ISC_EEEEENS4_IJSJ_SK_SL_SZ_SP_S10_EEENS4_IJSN_SO_SP_NSI_IJLi6EEEENSI_IJLi7ELi8EEEENSI_IJLi9EEEEEEENSI_IJLi6ELi7ELi8ELi9EEEElEENS3_INS4_IJSU_SE_SG_SG_S1D_S1E_EEENS4_IJSJ_SL_SK_SZ_SP_S10_EEES1K_S1L_lEENS3_INS4_IJSU_SG_SG_NSB_INS4_IJiNS7_IiLi2EEENS7_IiLi64EEEEEELb0EEES1T_EEENS4_IJSJ_SL_SK_SZ_S10_EEENS4_IJSN_SZ_S10_NSI_IJLi5ELi6ELi7EEEENSI_IJLi8ELi9ELi10EEEEEEENSI_IJLi5ELi6ELi7ELi8ELi9ELi10EEEElEENS_31BlockToCTileMap_M00_N00_M01_N01ILi128ELi128ES12_Lb0EEELb1ELb0EEEvPKT0_S25_PT1_T2_T3_T4_T5_
	.globl	_ZN2ck19kernel_gemm_dl_v1r3INS_28GridwiseGemmDl_km_kn_mn_v1r3ILi256EaiaLNS_25InMemoryDataOperationEnumE0ENS_16TensorDescriptorINS_5TupleIJNS_5EmbedINS4_IJiiEEENS4_IJNS_17integral_constantIiLi1EEEiEEELb0EEENS_7UnMergeINS4_IJiNS7_IiLi4EEEEEELb0EEENS_11PassThroughIiEEEEENS4_IJNS_8SequenceIJLi0EEEENSI_IJLi2EEEENSI_IJLi1EEEEEEENS4_IJNSI_IJLi1ELi2EEEENSI_IJLi3ELi4EEEENSI_IJLi5EEEEEEENSI_IJLi3ELi5ELi4EEEElEENS3_INS4_IJNS5_IS6_NS4_IJiS8_EEELb0EEESE_SG_EEENS4_IJSJ_SL_SK_EEESQ_SR_lEENS3_INS4_IJSU_SG_SG_EEESW_NS4_IJSN_NSI_IJLi3EEEENSI_IJLi4EEEEEEESO_lEELi128ELi128ELi16ELi4ELi4ELi4ELi1ENSI_IJLi8ELi2EEEES13_NSI_IJLi2ELi1ELi4ELi4EEEENSI_IJLi8ELi1ELi32ELi1EEEENSI_IJLi0ELi3ELi1ELi2EEEES16_NSI_IJLi1ELi1ELi4ELi1EEEES16_NSI_IJLi1ELi1ELi4ELi4EEEES14_S15_S16_S16_S17_S16_S18_NSI_IJLi0ELi1ELi2ELi3ELi4ELi5EEEELi5ELi4EEEaaNS3_INS4_IJSA_SE_SG_SG_NSB_INS4_IJiNS7_IiLi128EEEEEELb0EEENSF_ISC_EEEEENS4_IJSJ_SK_SL_SZ_SP_S10_EEENS4_IJSN_SO_SP_NSI_IJLi6EEEENSI_IJLi7ELi8EEEENSI_IJLi9EEEEEEENSI_IJLi6ELi7ELi8ELi9EEEElEENS3_INS4_IJSU_SE_SG_SG_S1D_S1E_EEENS4_IJSJ_SL_SK_SZ_SP_S10_EEES1K_S1L_lEENS3_INS4_IJSU_SG_SG_NSB_INS4_IJiNS7_IiLi2EEENS7_IiLi64EEEEEELb0EEES1T_EEENS4_IJSJ_SL_SK_SZ_S10_EEENS4_IJSN_SZ_S10_NSI_IJLi5ELi6ELi7EEEENSI_IJLi8ELi9ELi10EEEEEEENSI_IJLi5ELi6ELi7ELi8ELi9ELi10EEEElEENS_31BlockToCTileMap_M00_N00_M01_N01ILi128ELi128ES12_Lb0EEELb1ELb0EEEvPKT0_S25_PT1_T2_T3_T4_T5_
	.p2align	8
	.type	_ZN2ck19kernel_gemm_dl_v1r3INS_28GridwiseGemmDl_km_kn_mn_v1r3ILi256EaiaLNS_25InMemoryDataOperationEnumE0ENS_16TensorDescriptorINS_5TupleIJNS_5EmbedINS4_IJiiEEENS4_IJNS_17integral_constantIiLi1EEEiEEELb0EEENS_7UnMergeINS4_IJiNS7_IiLi4EEEEEELb0EEENS_11PassThroughIiEEEEENS4_IJNS_8SequenceIJLi0EEEENSI_IJLi2EEEENSI_IJLi1EEEEEEENS4_IJNSI_IJLi1ELi2EEEENSI_IJLi3ELi4EEEENSI_IJLi5EEEEEEENSI_IJLi3ELi5ELi4EEEElEENS3_INS4_IJNS5_IS6_NS4_IJiS8_EEELb0EEESE_SG_EEENS4_IJSJ_SL_SK_EEESQ_SR_lEENS3_INS4_IJSU_SG_SG_EEESW_NS4_IJSN_NSI_IJLi3EEEENSI_IJLi4EEEEEEESO_lEELi128ELi128ELi16ELi4ELi4ELi4ELi1ENSI_IJLi8ELi2EEEES13_NSI_IJLi2ELi1ELi4ELi4EEEENSI_IJLi8ELi1ELi32ELi1EEEENSI_IJLi0ELi3ELi1ELi2EEEES16_NSI_IJLi1ELi1ELi4ELi1EEEES16_NSI_IJLi1ELi1ELi4ELi4EEEES14_S15_S16_S16_S17_S16_S18_NSI_IJLi0ELi1ELi2ELi3ELi4ELi5EEEELi5ELi4EEEaaNS3_INS4_IJSA_SE_SG_SG_NSB_INS4_IJiNS7_IiLi128EEEEEELb0EEENSF_ISC_EEEEENS4_IJSJ_SK_SL_SZ_SP_S10_EEENS4_IJSN_SO_SP_NSI_IJLi6EEEENSI_IJLi7ELi8EEEENSI_IJLi9EEEEEEENSI_IJLi6ELi7ELi8ELi9EEEElEENS3_INS4_IJSU_SE_SG_SG_S1D_S1E_EEENS4_IJSJ_SL_SK_SZ_SP_S10_EEES1K_S1L_lEENS3_INS4_IJSU_SG_SG_NSB_INS4_IJiNS7_IiLi2EEENS7_IiLi64EEEEEELb0EEES1T_EEENS4_IJSJ_SL_SK_SZ_S10_EEENS4_IJSN_SZ_S10_NSI_IJLi5ELi6ELi7EEEENSI_IJLi8ELi9ELi10EEEEEEENSI_IJLi5ELi6ELi7ELi8ELi9ELi10EEEElEENS_31BlockToCTileMap_M00_N00_M01_N01ILi128ELi128ES12_Lb0EEELb1ELb0EEEvPKT0_S25_PT1_T2_T3_T4_T5_,@function
_ZN2ck19kernel_gemm_dl_v1r3INS_28GridwiseGemmDl_km_kn_mn_v1r3ILi256EaiaLNS_25InMemoryDataOperationEnumE0ENS_16TensorDescriptorINS_5TupleIJNS_5EmbedINS4_IJiiEEENS4_IJNS_17integral_constantIiLi1EEEiEEELb0EEENS_7UnMergeINS4_IJiNS7_IiLi4EEEEEELb0EEENS_11PassThroughIiEEEEENS4_IJNS_8SequenceIJLi0EEEENSI_IJLi2EEEENSI_IJLi1EEEEEEENS4_IJNSI_IJLi1ELi2EEEENSI_IJLi3ELi4EEEENSI_IJLi5EEEEEEENSI_IJLi3ELi5ELi4EEEElEENS3_INS4_IJNS5_IS6_NS4_IJiS8_EEELb0EEESE_SG_EEENS4_IJSJ_SL_SK_EEESQ_SR_lEENS3_INS4_IJSU_SG_SG_EEESW_NS4_IJSN_NSI_IJLi3EEEENSI_IJLi4EEEEEEESO_lEELi128ELi128ELi16ELi4ELi4ELi4ELi1ENSI_IJLi8ELi2EEEES13_NSI_IJLi2ELi1ELi4ELi4EEEENSI_IJLi8ELi1ELi32ELi1EEEENSI_IJLi0ELi3ELi1ELi2EEEES16_NSI_IJLi1ELi1ELi4ELi1EEEES16_NSI_IJLi1ELi1ELi4ELi4EEEES14_S15_S16_S16_S17_S16_S18_NSI_IJLi0ELi1ELi2ELi3ELi4ELi5EEEELi5ELi4EEEaaNS3_INS4_IJSA_SE_SG_SG_NSB_INS4_IJiNS7_IiLi128EEEEEELb0EEENSF_ISC_EEEEENS4_IJSJ_SK_SL_SZ_SP_S10_EEENS4_IJSN_SO_SP_NSI_IJLi6EEEENSI_IJLi7ELi8EEEENSI_IJLi9EEEEEEENSI_IJLi6ELi7ELi8ELi9EEEElEENS3_INS4_IJSU_SE_SG_SG_S1D_S1E_EEENS4_IJSJ_SL_SK_SZ_SP_S10_EEES1K_S1L_lEENS3_INS4_IJSU_SG_SG_NSB_INS4_IJiNS7_IiLi2EEENS7_IiLi64EEEEEELb0EEES1T_EEENS4_IJSJ_SL_SK_SZ_S10_EEENS4_IJSN_SZ_S10_NSI_IJLi5ELi6ELi7EEEENSI_IJLi8ELi9ELi10EEEEEEENSI_IJLi5ELi6ELi7ELi8ELi9ELi10EEEElEENS_31BlockToCTileMap_M00_N00_M01_N01ILi128ELi128ES12_Lb0EEELb1ELb0EEEvPKT0_S25_PT1_T2_T3_T4_T5_: ; @_ZN2ck19kernel_gemm_dl_v1r3INS_28GridwiseGemmDl_km_kn_mn_v1r3ILi256EaiaLNS_25InMemoryDataOperationEnumE0ENS_16TensorDescriptorINS_5TupleIJNS_5EmbedINS4_IJiiEEENS4_IJNS_17integral_constantIiLi1EEEiEEELb0EEENS_7UnMergeINS4_IJiNS7_IiLi4EEEEEELb0EEENS_11PassThroughIiEEEEENS4_IJNS_8SequenceIJLi0EEEENSI_IJLi2EEEENSI_IJLi1EEEEEEENS4_IJNSI_IJLi1ELi2EEEENSI_IJLi3ELi4EEEENSI_IJLi5EEEEEEENSI_IJLi3ELi5ELi4EEEElEENS3_INS4_IJNS5_IS6_NS4_IJiS8_EEELb0EEESE_SG_EEENS4_IJSJ_SL_SK_EEESQ_SR_lEENS3_INS4_IJSU_SG_SG_EEESW_NS4_IJSN_NSI_IJLi3EEEENSI_IJLi4EEEEEEESO_lEELi128ELi128ELi16ELi4ELi4ELi4ELi1ENSI_IJLi8ELi2EEEES13_NSI_IJLi2ELi1ELi4ELi4EEEENSI_IJLi8ELi1ELi32ELi1EEEENSI_IJLi0ELi3ELi1ELi2EEEES16_NSI_IJLi1ELi1ELi4ELi1EEEES16_NSI_IJLi1ELi1ELi4ELi4EEEES14_S15_S16_S16_S17_S16_S18_NSI_IJLi0ELi1ELi2ELi3ELi4ELi5EEEELi5ELi4EEEaaNS3_INS4_IJSA_SE_SG_SG_NSB_INS4_IJiNS7_IiLi128EEEEEELb0EEENSF_ISC_EEEEENS4_IJSJ_SK_SL_SZ_SP_S10_EEENS4_IJSN_SO_SP_NSI_IJLi6EEEENSI_IJLi7ELi8EEEENSI_IJLi9EEEEEEENSI_IJLi6ELi7ELi8ELi9EEEElEENS3_INS4_IJSU_SE_SG_SG_S1D_S1E_EEENS4_IJSJ_SL_SK_SZ_SP_S10_EEES1K_S1L_lEENS3_INS4_IJSU_SG_SG_NSB_INS4_IJiNS7_IiLi2EEENS7_IiLi64EEEEEELb0EEES1T_EEENS4_IJSJ_SL_SK_SZ_S10_EEENS4_IJSN_SZ_S10_NSI_IJLi5ELi6ELi7EEEENSI_IJLi8ELi9ELi10EEEEEEENSI_IJLi5ELi6ELi7ELi8ELi9ELi10EEEElEENS_31BlockToCTileMap_M00_N00_M01_N01ILi128ELi128ES12_Lb0EEELb1ELb0EEEvPKT0_S25_PT1_T2_T3_T4_T5_
; %bb.0:
	s_clause 0xb
	s_load_b128 s[24:27], s[0:1], 0x11c
	s_load_b128 s[16:19], s[0:1], 0x0
	s_load_b64 s[4:5], s[0:1], 0x10
	s_load_b128 s[20:23], s[0:1], 0x130
	s_load_b32 s30, s[0:1], 0x24
	s_load_b32 s36, s[0:1], 0x38
	;; [unrolled: 1-line block ×6, first 2 shown]
	s_load_b64 s[6:7], s[0:1], 0xd0
	s_load_b32 s3, s[0:1], 0xec
	s_waitcnt lgkmcnt(0)
	s_clause 0x1
	s_load_b32 s7, s[0:1], 0xfc
	s_load_b128 s[40:43], s[0:1], 0x108
	v_lshrrev_b32_e32 v1, 4, v0
	v_lshrrev_b32_e32 v3, 5, v0
	s_movk_i32 s32, 0x1e0
	v_mov_b32_e32 v34, 0
	v_lshlrev_b32_e32 v2, 2, v0
	v_lshlrev_b32_e32 v0, 1, v0
	v_and_b32_e32 v19, 14, v1
	s_mul_hi_u32 s0, s27, s15
	v_lshlrev_b32_e32 v1, 6, v3
	s_add_i32 s0, s15, s0
	v_dual_mov_b32 v5, v34 :: v_dual_and_b32 v4, 0x1f8, v0
	s_lshr_b32 s0, s0, s23
	v_dual_mov_b32 v7, v34 :: v_dual_and_b32 v0, 0x1fc, v0
	s_mul_hi_u32 s1, s0, s26
	v_dual_mov_b32 v36, v34 :: v_dual_and_b32 v75, 0x7c, v2
	s_add_i32 s1, s0, s1
	s_waitcnt lgkmcnt(0)
	s_mul_i32 s9, s0, s43
	s_lshr_b32 s1, s1, s22
	s_sub_i32 s9, s15, s9
	s_mul_hi_u32 s8, s1, s25
	s_mul_i32 s12, s1, s42
	s_add_i32 s8, s1, s8
	s_sub_i32 s0, s0, s12
	s_lshr_b32 s8, s8, s21
	v_sub_nc_u32_e32 v1, v4, v1
	s_mul_i32 s12, s8, s41
	s_mul_hi_u32 s11, s8, s24
	s_sub_i32 s1, s1, s12
	v_sub_nc_u32_e32 v4, v0, v4
	s_mul_i32 s1, s1, s7
	s_add_i32 s11, s8, s11
	s_add_i32 s9, s9, s1
	s_lshr_b32 s11, s11, s20
	s_lshl_b32 s20, s9, 7
	s_mul_i32 s11, s11, s40
	v_dual_mov_b32 v9, v34 :: v_dual_lshlrev_b32 v20, 2, v19
	v_or_b32_e32 v0, s20, v75
	v_lshl_add_u32 v35, v3, 3, v4
	v_and_or_b32 v37, v2, 4, v1
	s_mov_b32 s12, 0
	s_sub_i32 s8, s8, s11
	s_mov_b32 s15, s12
	s_mul_i32 s8, s8, s3
	s_mov_b32 s13, s12
	s_mov_b32 s14, s12
	v_dual_mov_b32 v4, v34 :: v_dual_mov_b32 v41, s15
	s_add_i32 s0, s0, s8
	v_mad_u64_u32 v[17:18], null, s31, v20, v[0:1]
	v_dual_mov_b32 v11, v34 :: v_dual_lshlrev_b32 v0, 2, v35
	v_dual_mov_b32 v1, v34 :: v_dual_mov_b32 v2, v35
	v_dual_mov_b32 v3, v34 :: v_dual_mov_b32 v10, v37
	;; [unrolled: 1-line block ×3, first 2 shown]
	v_mov_b32_e32 v38, s12
	v_dual_mov_b32 v6, v35 :: v_dual_mov_b32 v13, v34
	s_lshl_b32 s22, s0, 7
	v_dual_mov_b32 v15, v34 :: v_dual_lshlrev_b32 v8, 2, v37
	s_mov_b64 s[0:1], src_shared_base
	v_mov_b32_e32 v12, v34
	v_mov_b32_e32 v14, v37
	s_clause 0x8
	scratch_store_b128 off, v[34:37], off offset:64
	scratch_store_b128 off, v[0:3], off offset:80
	scratch_store_b128 off, v[4:7], off offset:96
	scratch_store_b128 off, v[8:11], off offset:112
	scratch_store_b128 off, v[12:15], off offset:128
	scratch_store_b128 off, v[38:41], off offset:144
	scratch_store_b128 off, v[38:41], off offset:160
	scratch_store_b128 off, v[38:41], off offset:176
	scratch_store_b128 off, v[38:41], off offset:192
	v_dual_mov_b32 v1, s1 :: v_dual_mov_b32 v0, v34
	s_clause 0x6
	scratch_store_b128 off, v[38:41], off offset:208
	scratch_store_b128 off, v[38:41], off offset:224
	;; [unrolled: 1-line block ×6, first 2 shown]
	scratch_store_b64 off, v[0:1], off offset:400
	v_mov_b32_e32 v0, 0x4000
	s_clause 0x4
	scratch_store_b128 off, v[38:41], off offset:304
	scratch_store_b128 off, v[38:41], off offset:320
	;; [unrolled: 1-line block ×4, first 2 shown]
	scratch_store_b64 off, v[0:1], off offset:416
	s_lshl_b32 s7, s31, 2
	v_mov_b32_e32 v0, 0x2000
	v_or_b32_e32 v16, s22, v75
	s_clause 0x5
	scratch_store_b128 off, v[38:41], off offset:368
	scratch_store_b128 off, v[38:41], off offset:384
	scratch_store_b8 off, v34, off offset:409
	scratch_store_b8 off, v34, off offset:425
	scratch_store_b64 off, v[0:1], off offset:432
	scratch_store_b8 off, v34, off offset:441
	v_mov_b32_e32 v0, 0x6000
	s_clause 0x1
	scratch_store_b64 off, v[0:1], off offset:448
	scratch_store_b8 off, v34, off offset:457
	v_mad_u64_u32 v[0:1], null, s30, v20, v[16:17]
	v_add_nc_u32_e32 v1, s31, v17
	s_mov_b32 s3, 0x31004000
	s_mov_b32 s8, s18
	;; [unrolled: 1-line block ×6, first 2 shown]
	s_clause 0x1
	buffer_load_b32 v2, v17, s[8:11], 0 offen
	buffer_load_b32 v3, v1, s[8:11], 0 offen
	;; [unrolled: 1-line block ×3, first 2 shown]
	v_add_nc_u32_e32 v5, s31, v1
	v_add_nc_u32_e32 v7, s30, v0
	;; [unrolled: 1-line block ×3, first 2 shown]
	v_lshlrev_b32_e32 v16, 2, v75
	s_mov_b64 s[14:15], src_private_base
	buffer_load_b32 v6, v5, s[8:11], 0 offen
	buffer_load_b32 v8, v7, s[0:3], 0 offen
	v_add_nc_u32_e32 v9, s31, v5
	v_add_nc_u32_e32 v11, s30, v7
	v_lshl_or_b32 v34, v19, 9, v16
	v_or_b32_e32 v16, 0x84, v20
	v_or_b32_e32 v18, 0x86, v20
	buffer_load_b32 v10, v9, s[8:11], 0 offen
	buffer_load_b32 v12, v11, s[0:3], 0 offen
	v_add_nc_u32_e32 v9, s7, v9
	v_add_nc_u32_e32 v14, s30, v11
	;; [unrolled: 1-line block ×4, first 2 shown]
	s_lshl_b32 s7, s30, 2
	s_clause 0x3
	buffer_load_b32 v9, v9, s[8:11], 0 offen
	buffer_load_b32 v5, v5, s[8:11], 0 offen
	;; [unrolled: 1-line block ×5, first 2 shown]
	v_add_nc_u32_e32 v14, s7, v14
	v_add_nc_u32_e32 v11, s7, v11
	;; [unrolled: 1-line block ×4, first 2 shown]
	s_clause 0x3
	buffer_load_b32 v14, v14, s[0:3], 0 offen
	buffer_load_b32 v11, v11, s[0:3], 0 offen
	buffer_load_b32 v7, v7, s[0:3], 0 offen
	buffer_load_b32 v0, v0, s[0:3], 0 offen
	v_or_b32_e32 v17, 0x85, v20
	s_mov_b32 s21, s15
	v_or_b32_e32 v19, 0x87, v20
	v_or_b32_e32 v21, 0x83, v20
	;; [unrolled: 1-line block ×3, first 2 shown]
	v_mad_u64_u32 v[42:43], null, s31, v16, s[20:21]
	v_or_b32_e32 v23, 0x81, v20
	v_mad_u64_u32 v[43:44], null, s31, v17, s[20:21]
	v_or_b32_e32 v24, 0x80, v20
	v_mad_u64_u32 v[44:45], null, s31, v18, s[20:21]
	v_or_b32_e32 v25, 0x44, v20
	v_mad_u64_u32 v[45:46], null, s31, v19, s[20:21]
	v_or_b32_e32 v26, 0x45, v20
	v_mad_u64_u32 v[46:47], null, s31, v21, s[20:21]
	v_or_b32_e32 v27, 0x46, v20
	v_mad_u64_u32 v[47:48], null, s31, v22, s[20:21]
	v_or_b32_e32 v28, 0x47, v20
	v_mad_u64_u32 v[48:49], null, s31, v23, s[20:21]
	v_or_b32_e32 v29, 0x43, v20
	v_mad_u64_u32 v[49:50], null, s31, v24, s[20:21]
	v_or_b32_e32 v30, 0x42, v20
	v_mad_u64_u32 v[50:51], null, s31, v25, s[20:21]
	v_or_b32_e32 v31, 0x41, v20
	v_mad_u64_u32 v[51:52], null, s31, v26, s[20:21]
	v_or_b32_e32 v20, 64, v20
	v_mad_u64_u32 v[52:53], null, s31, v27, s[20:21]
	v_mad_u64_u32 v[53:54], null, s31, v28, s[20:21]
	;; [unrolled: 1-line block ×4, first 2 shown]
	s_mov_b32 s23, s15
	v_mad_u64_u32 v[56:57], null, s31, v31, s[20:21]
	v_mad_u64_u32 v[57:58], null, s31, v20, s[20:21]
	;; [unrolled: 1-line block ×18, first 2 shown]
	s_mov_b32 s14, 64
	s_movk_i32 s7, 0x90
	s_movk_i32 s18, 0x190
	;; [unrolled: 1-line block ×5, first 2 shown]
	s_mov_b32 s26, 0
	s_mov_b32 s27, 32
	;; [unrolled: 1-line block ×7, first 2 shown]
	s_sub_i32 s36, s36, 32
	s_lshl_b32 s37, s31, 7
	s_lshl_b32 s38, s30, 7
	s_getpc_b64 s[16:17]
	s_add_u32 s16, s16, _ZNK2ck6detail15static_for_implINS_8SequenceIJLi1ELi2ELi3ELi4ELi5ELi6ELi7ELi8ELi9ELi10ELi11ELi12ELi13ELi14ELi15EEEEEclIZNKS_80BlockwiseGemmDl_A_BK0_BM_BK1_B_BK0_BN_BK1_C_BM0_BM1_BN0_BN1_pipeline_BM0_2_BN0_2ILi256EaaiKNS_16TensorDescriptorINS_5TupleIJNS_5EmbedINS8_IJNS_17integral_constantIiLi16EEENSA_IiLi128EEENSA_IiLi4EEEEEENS8_IJNSA_IiLi512EEESD_NSA_IiLi1EEEEEELb0EEEEEENS8_IJNS2_IJLi0EEEEEEENS8_IJNS2_IJLi1ELi2ELi3EEEEEEESM_NSA_IlLl8192EEEEESQ_Li4ELi4ELi1ENS2_IJLi8ELi2EEEESR_Li4ELi4ELb0EE3RunINS7_INS8_IJNS_7UnMergeINS8_IJNSA_IiLi2EEESD_SV_SD_EEELb0EEEEEESL_NS8_IJNS2_IJLi1ELi2ELi3ELi4EEEEEEESZ_NSA_IlLl64EEEEENS_13DynamicBufferILNS_16AddressSpaceEnumE2EaSO_Lb1ELNS_22AmdBufferCoherenceEnumE0EiEES16_NS_12StaticBufferILS14_4EiLi64ELb1EEEEEvRKT_RKT0_RKT1_RT2_EUlS19_E_EEvS19_@rel32@lo+4
	s_addc_u32 s17, s17, _ZNK2ck6detail15static_for_implINS_8SequenceIJLi1ELi2ELi3ELi4ELi5ELi6ELi7ELi8ELi9ELi10ELi11ELi12ELi13ELi14ELi15EEEEEclIZNKS_80BlockwiseGemmDl_A_BK0_BM_BK1_B_BK0_BN_BK1_C_BM0_BM1_BN0_BN1_pipeline_BM0_2_BN0_2ILi256EaaiKNS_16TensorDescriptorINS_5TupleIJNS_5EmbedINS8_IJNS_17integral_constantIiLi16EEENSA_IiLi128EEENSA_IiLi4EEEEEENS8_IJNSA_IiLi512EEESD_NSA_IiLi1EEEEEELb0EEEEEENS8_IJNS2_IJLi0EEEEEEENS8_IJNS2_IJLi1ELi2ELi3EEEEEEESM_NSA_IlLl8192EEEEESQ_Li4ELi4ELi1ENS2_IJLi8ELi2EEEESR_Li4ELi4ELb0EE3RunINS7_INS8_IJNS_7UnMergeINS8_IJNSA_IiLi2EEESD_SV_SD_EEELb0EEEEEESL_NS8_IJNS2_IJLi1ELi2ELi3ELi4EEEEEEESZ_NSA_IlLl64EEEEENS_13DynamicBufferILNS_16AddressSpaceEnumE2EaSO_Lb1ELNS_22AmdBufferCoherenceEnumE0EiEES16_NS_12StaticBufferILS14_4EiLi64ELb1EEEEEvRKT_RKT0_RKT1_RT2_EUlS19_E_EEvS19_@rel32@hi+12
	s_waitcnt vmcnt(15)
	v_lshrrev_b32_e32 v16, 16, v2
	v_lshrrev_b16 v17, 8, v2
	v_lshrrev_b32_e32 v18, 24, v2
	v_and_b32_e32 v2, 0xff, v2
	s_waitcnt vmcnt(14)
	v_lshrrev_b32_e32 v19, 16, v3
	v_and_b32_e32 v20, 0xffffff00, v3
	v_lshlrev_b16 v3, 8, v3
	s_waitcnt vmcnt(13)
	v_lshrrev_b32_e32 v22, 16, v4
	v_and_b32_e32 v16, 0xff, v16
	v_and_b32_e32 v24, 0xffffff00, v19
	v_lshlrev_b16 v19, 8, v19
	v_or_b32_e32 v17, v17, v20
	s_waitcnt vmcnt(12)
	v_lshrrev_b16 v20, 8, v6
	v_lshrrev_b32_e32 v25, 16, v6
	v_lshrrev_b32_e32 v26, 24, v6
	v_or_b32_e32 v2, v2, v3
	v_and_b32_e32 v3, 0xff, v6
	v_and_b32_e32 v6, 0xff, v22
	s_waitcnt vmcnt(11)
	v_lshrrev_b32_e32 v22, 16, v8
	v_lshrrev_b16 v21, 8, v4
	v_lshrrev_b32_e32 v23, 24, v4
	v_and_b32_e32 v4, 0xff, v4
	v_and_b32_e32 v27, 0xffffff00, v8
	v_lshlrev_b16 v8, 8, v8
	v_or_b32_e32 v18, v18, v24
	v_or_b32_e32 v16, v16, v19
	v_and_b32_e32 v19, 0xff, v25
	s_waitcnt vmcnt(10)
	v_lshrrev_b32_e32 v24, 16, v10
	v_and_b32_e32 v25, 0xffffff00, v10
	v_lshlrev_b16 v10, 8, v10
	v_and_b32_e32 v28, 0xffffff00, v22
	v_lshlrev_b16 v22, 8, v22
	v_or_b32_e32 v21, v21, v27
	s_waitcnt vmcnt(9)
	v_lshrrev_b16 v27, 8, v12
	v_lshrrev_b32_e32 v29, 16, v12
	v_lshrrev_b32_e32 v30, 24, v12
	v_or_b32_e32 v4, v4, v8
	v_and_b32_e32 v8, 0xff, v12
	v_and_b32_e32 v12, 0xffffff00, v24
	v_lshlrev_b16 v24, 8, v24
	v_or_b32_e32 v20, v20, v25
	s_waitcnt vmcnt(8)
	v_lshrrev_b32_e32 v25, 16, v9
	s_waitcnt vmcnt(7)
	v_lshrrev_b32_e32 v31, 24, v5
	v_lshrrev_b32_e32 v32, 16, v5
	v_and_b32_e32 v33, 0xffffff00, v9
	v_lshrrev_b16 v36, 8, v5
	s_waitcnt vmcnt(6)
	v_lshrrev_b32_e32 v74, 16, v1
	s_waitcnt vmcnt(5)
	v_lshrrev_b32_e32 v76, 24, v13
	v_lshrrev_b32_e32 v77, 16, v13
	v_and_b32_e32 v78, 0xffffff00, v1
	v_lshrrev_b16 v79, 8, v13
	v_or_b32_e32 v3, v3, v10
	v_and_b32_e32 v10, 0xffff, v16
	v_and_b32_e32 v16, 0xffff, v18
	;; [unrolled: 1-line block ×3, first 2 shown]
	v_lshlrev_b16 v1, 8, v1
	v_and_b32_e32 v5, 0xff, v5
	v_lshlrev_b16 v9, 8, v9
	v_or_b32_e32 v18, v23, v28
	s_waitcnt vmcnt(4)
	v_lshrrev_b32_e32 v23, 16, v15
	v_and_b32_e32 v28, 0xffffff00, v15
	v_and_b32_e32 v2, 0xffff, v2
	;; [unrolled: 1-line block ×3, first 2 shown]
	v_or_b32_e32 v6, v6, v22
	v_and_b32_e32 v22, 0xff, v29
	v_and_b32_e32 v29, 0xffff, v4
	v_lshlrev_b16 v4, 8, v15
	v_and_b32_e32 v15, 0xffff, v21
	v_or_b32_e32 v12, v26, v12
	v_or_b32_e32 v19, v19, v24
	v_and_b32_e32 v21, 0xffffff00, v25
	v_lshlrev_b16 v24, 8, v25
	v_and_b32_e32 v25, 0xff, v32
	v_or_b32_e32 v26, v36, v33
	v_and_b32_e32 v32, 0xffffff00, v74
	v_lshlrev_b16 v33, 8, v74
	v_or_b32_e32 v74, v79, v78
	v_lshlrev_b32_e32 v3, 16, v3
	v_lshlrev_b32_e32 v20, 16, v20
	v_or_b32_e32 v13, v13, v1
	v_or_b32_e32 v5, v5, v9
	v_and_b32_e32 v9, 0xffffff00, v23
	v_lshlrev_b16 v23, 8, v23
	v_or_b32_e32 v27, v27, v28
	s_waitcnt vmcnt(3)
	v_lshrrev_b32_e32 v28, 16, v14
	s_waitcnt vmcnt(2)
	v_lshrrev_b32_e32 v78, 16, v11
	;; [unrolled: 2-line block ×4, first 2 shown]
	v_and_b32_e32 v36, 0xff, v77
	v_lshrrev_b32_e32 v77, 24, v11
	v_and_b32_e32 v79, 0xffffff00, v14
	v_lshrrev_b16 v80, 8, v11
	v_lshrrev_b32_e32 v82, 24, v0
	v_and_b32_e32 v84, 0xffffff00, v7
	v_lshrrev_b16 v85, 8, v0
	v_or_b32_e32 v4, v8, v4
	v_and_b32_e32 v8, 0xff, v0
	v_lshlrev_b16 v7, 8, v7
	v_and_b32_e32 v11, 0xff, v11
	v_lshlrev_b16 v14, 8, v14
	v_or_b32_e32 v24, v25, v24
	v_or_b32_e32 v25, v76, v32
	v_or_b32_e32 v0, v2, v3
	v_or_b32_e32 v1, v17, v20
	v_lshlrev_b32_e32 v2, 16, v19
	v_lshlrev_b32_e32 v3, 16, v12
	v_and_b32_e32 v12, 0xffff, v13
	v_lshlrev_b32_e32 v5, 16, v5
	v_and_b32_e32 v13, 0xffff, v74
	v_lshlrev_b32_e32 v17, 16, v26
	v_or_b32_e32 v19, v30, v9
	v_or_b32_e32 v20, v22, v23
	v_and_b32_e32 v9, 0xffffff00, v28
	v_lshlrev_b16 v22, 8, v28
	v_and_b32_e32 v23, 0xff, v78
	v_and_b32_e32 v28, 0xffffff00, v81
	v_lshlrev_b16 v30, 8, v81
	v_and_b32_e32 v32, 0xff, v83
	v_lshlrev_b32_e32 v27, 16, v27
	v_and_b32_e32 v6, 0xffff, v6
	v_or_b32_e32 v21, v31, v21
	v_or_b32_e32 v31, v36, v33
	;; [unrolled: 1-line block ×4, first 2 shown]
	v_lshlrev_b32_e32 v36, 16, v4
	v_or_b32_e32 v7, v8, v7
	v_or_b32_e32 v11, v11, v14
	v_or_b32_e32 v2, v10, v2
	v_or_b32_e32 v4, v12, v5
	v_or_b32_e32 v5, v13, v17
	v_or_b32_e32 v12, v77, v9
	v_or_b32_e32 v13, v23, v22
	v_or_b32_e32 v14, v82, v28
	v_or_b32_e32 v22, v32, v30
	v_lshlrev_b32_e32 v10, 16, v20
	v_and_b32_e32 v18, 0xffff, v18
	v_or_b32_e32 v9, v15, v27
	v_lshlrev_b32_e32 v15, 16, v19
	v_lshlrev_b32_e32 v17, 16, v24
	v_and_b32_e32 v24, 0xffff, v25
	v_and_b32_e32 v7, 0xffff, v7
	v_lshlrev_b32_e32 v19, 16, v11
	v_and_b32_e32 v20, 0xffff, v33
	v_lshlrev_b32_e32 v23, 16, v26
	v_or_b32_e32 v10, v6, v10
	v_and_b32_e32 v6, 0xffff, v22
	v_lshlrev_b32_e32 v22, 16, v13
	v_and_b32_e32 v25, 0xffff, v14
	v_lshlrev_b32_e32 v26, 16, v12
	v_or_b32_e32 v3, v16, v3
	v_and_b32_e32 v16, 0xffff, v31
	v_lshlrev_b32_e32 v21, 16, v21
	v_or_b32_e32 v8, v29, v36
	v_or_b32_e32 v11, v18, v15
	;; [unrolled: 1-line block ×8, first 2 shown]
	ds_store_b128 v34, v[8:11]
	ds_store_b128 v34, v[12:15] offset:512
	ds_store_b128 v34, v[0:3] offset:16384
	;; [unrolled: 1-line block ×3, first 2 shown]
.LBB3_1:                                ; =>This Inner Loop Header: Depth=1
	v_add_nc_u32_e32 v0, v75, v73
	v_add_nc_u32_e32 v2, v75, v72
	;; [unrolled: 1-line block ×9, first 2 shown]
	s_clause 0x7
	buffer_load_b32 v98, v0, s[0:3], 0 offen
	buffer_load_b32 v99, v2, s[0:3], 0 offen
	;; [unrolled: 1-line block ×8, first 2 shown]
	v_add_nc_u32_e32 v0, v75, v56
	v_add_nc_u32_e32 v2, v75, v55
	;; [unrolled: 1-line block ×7, first 2 shown]
	s_clause 0x7
	buffer_load_b32 v78, v1, s[8:11], 0 offen
	buffer_load_b32 v80, v0, s[8:11], 0 offen
	;; [unrolled: 1-line block ×8, first 2 shown]
	s_waitcnt vmcnt(0) lgkmcnt(0)
	s_waitcnt_vscnt null, 0x0
	s_barrier
	s_clause 0x3
	scratch_load_b32 v2, off, off offset:80
	scratch_load_b64 v[0:1], off, off offset:400
	scratch_load_b32 v6, off, off offset:112
	scratch_load_b64 v[4:5], off, off offset:416
	s_clause 0x3
	scratch_store_b128 off, v[38:41], off
	scratch_store_b128 off, v[38:41], off offset:16
	scratch_store_b128 off, v[38:41], off offset:32
	;; [unrolled: 1-line block ×3, first 2 shown]
	v_lshrrev_b32_e32 v106, 24, v98
	v_lshrrev_b32_e32 v107, 16, v99
	v_and_b32_e32 v108, 0xffffff00, v99
	v_lshrrev_b16 v109, 8, v100
	v_lshrrev_b32_e32 v110, 16, v100
	v_lshrrev_b32_e32 v112, 16, v101
	v_and_b32_e32 v113, 0xffffff00, v101
	v_lshrrev_b32_e32 v114, 16, v102
	v_lshrrev_b32_e32 v116, 16, v103
	v_and_b32_e32 v117, 0xffffff00, v102
	v_lshrrev_b16 v118, 8, v103
	v_lshrrev_b32_e32 v119, 16, v104
	v_lshrrev_b32_e32 v121, 16, v105
	v_and_b32_e32 v122, 0xffffff00, v104
	v_lshrrev_b16 v123, 8, v105
	v_lshrrev_b16 v124, 8, v78
	s_waitcnt vmcnt(3)
	v_ashrrev_i32_e32 v3, 31, v2
	s_waitcnt vmcnt(2)
	v_add_co_u32 v32, vcc_lo, v0, v2
	s_waitcnt vmcnt(1)
	v_ashrrev_i32_e32 v7, 31, v6
	v_lshrrev_b32_e32 v125, 16, v78
	v_add_co_ci_u32_e32 v33, vcc_lo, v1, v3, vcc_lo
	s_waitcnt vmcnt(0)
	v_add_co_u32 v8, vcc_lo, v4, v6
	v_add_co_ci_u32_e32 v9, vcc_lo, v5, v7, vcc_lo
	flat_load_b128 v[0:3], v[32:33]
	v_lshrrev_b32_e32 v127, 16, v80
	v_and_b32_e32 v128, 0xffffff00, v80
	v_lshrrev_b16 v129, 8, v79
	v_lshrrev_b32_e32 v130, 16, v79
	v_lshrrev_b32_e32 v132, 16, v81
	v_and_b32_e32 v133, 0xffffff00, v81
	v_lshrrev_b32_e32 v134, 16, v36
	v_lshrrev_b32_e32 v136, 16, v74
	v_and_b32_e32 v137, 0xffffff00, v36
	v_lshrrev_b16 v138, 8, v74
	v_lshrrev_b32_e32 v139, 16, v76
	v_lshrrev_b32_e32 v141, 16, v77
	;; [unrolled: 1-line block ×9, first 2 shown]
	v_and_b32_e32 v142, 0xffffff00, v76
	v_lshrrev_b16 v143, 8, v77
	v_and_b32_e32 v144, 0xffffff00, v107
	v_lshlrev_b16 v107, 8, v107
	v_or_b32_e32 v109, v109, v113
	v_and_b32_e32 v113, 0xffffff00, v114
	v_lshlrev_b16 v114, 8, v114
	v_and_b32_e32 v116, 0xff, v116
	v_or_b32_e32 v117, v118, v117
	v_and_b32_e32 v118, 0xffffff00, v119
	v_lshlrev_b16 v119, 8, v119
	v_and_b32_e32 v121, 0xff, v121
	v_or_b32_e32 v122, v123, v122
	v_and_b32_e32 v123, 0xff, v125
	v_and_b32_e32 v125, 0xffffff00, v127
	v_lshlrev_b16 v127, 8, v127
	v_or_b32_e32 v124, v124, v128
	v_and_b32_e32 v128, 0xff, v130
	v_and_b32_e32 v130, 0xffffff00, v132
	v_lshlrev_b16 v132, 8, v132
	v_or_b32_e32 v129, v129, v133
	v_and_b32_e32 v133, 0xffffff00, v134
	v_lshlrev_b16 v134, 8, v134
	v_and_b32_e32 v136, 0xff, v136
	v_or_b32_e32 v137, v138, v137
	v_and_b32_e32 v138, 0xffffff00, v139
	v_lshlrev_b16 v139, 8, v139
	v_and_b32_e32 v141, 0xff, v141
	v_or_b32_e32 v142, v143, v142
	v_or_b32_e32 v106, v106, v144
	s_waitcnt vmcnt(0) lgkmcnt(0)
	scratch_store_b128 off, v[0:3], off
	flat_load_b128 v[4:7], v[8:9]
	s_waitcnt vmcnt(0) lgkmcnt(0)
	scratch_store_b128 off, v[4:7], off offset:32
	flat_load_b128 v[8:11], v[8:9] offset:256
	s_clause 0x7
	scratch_load_b128 v[12:15], off, off offset:144
	scratch_load_b128 v[16:19], off, off offset:176
	;; [unrolled: 1-line block ×8, first 2 shown]
	s_waitcnt vmcnt(8) lgkmcnt(0)
	scratch_store_b128 off, v[8:11], off offset:48
	flat_load_b128 v[94:97], v[32:33] offset:256
	v_lshrrev_b16 v32, 8, v98
	v_lshrrev_b32_e32 v33, 16, v98
	s_waitcnt vmcnt(8)
	v_dot4_i32_iu8 v12, v0, v4, v12 neg_lo:[1,1,0]
	v_dot4_i32_iu8 v13, v0, v5, v13 neg_lo:[1,1,0]
	v_dot4_i32_iu8 v14, v0, v6, v14 neg_lo:[1,1,0]
	v_dot4_i32_iu8 v15, v0, v7, v15 neg_lo:[1,1,0]
	s_waitcnt vmcnt(7)
	v_dot4_i32_iu8 v16, v1, v4, v16 neg_lo:[1,1,0]
	v_dot4_i32_iu8 v17, v1, v5, v17 neg_lo:[1,1,0]
	v_dot4_i32_iu8 v18, v1, v6, v18 neg_lo:[1,1,0]
	v_dot4_i32_iu8 v19, v1, v7, v19 neg_lo:[1,1,0]
	;; [unrolled: 5-line block ×7, first 2 shown]
	s_waitcnt vmcnt(1)
	v_dot4_i32_iu8 v0, v3, v8, v90 neg_lo:[1,1,0]
	v_dot4_i32_iu8 v1, v3, v9, v91 neg_lo:[1,1,0]
	;; [unrolled: 1-line block ×3, first 2 shown]
	v_mov_b32_e32 v10, s13
	v_dot4_i32_iu8 v3, v3, v11, v93 neg_lo:[1,1,0]
	v_and_b32_e32 v33, 0xff, v33
	v_or_b32_e32 v108, v32, v108
	v_and_b32_e32 v32, 0xff, v110
	v_and_b32_e32 v110, 0xffffff00, v112
	v_lshlrev_b16 v112, 8, v112
	v_dual_mov_b32 v8, s7 :: v_dual_mov_b32 v9, s21
	v_mov_b32_e32 v11, s19
	v_or_b32_e32 v107, v33, v107
	v_or_b32_e32 v110, v111, v110
	v_or_b32_e32 v111, v32, v112
	v_or_b32_e32 v112, v115, v113
	v_or_b32_e32 v113, v116, v114
	v_or_b32_e32 v114, v120, v118
	v_or_b32_e32 v115, v121, v119
	v_or_b32_e32 v116, v126, v125
	v_or_b32_e32 v118, v123, v127
	v_or_b32_e32 v119, v131, v130
	v_or_b32_e32 v120, v128, v132
	v_or_b32_e32 v121, v135, v133
	v_or_b32_e32 v123, v136, v134
	v_or_b32_e32 v125, v140, v138
	v_or_b32_e32 v126, v141, v139
	s_clause 0x7
	scratch_store_b128 off, v[12:15], off offset:144
	scratch_store_b128 off, v[24:27], off offset:160
	;; [unrolled: 1-line block ×8, first 2 shown]
	s_waitcnt vmcnt(0) lgkmcnt(0)
	scratch_store_b128 off, v[94:97], off offset:16
	v_dual_mov_b32 v0, s14 :: v_dual_mov_b32 v1, s15
	v_dual_mov_b32 v2, s18 :: v_dual_mov_b32 v3, s23
	;; [unrolled: 1-line block ×4, first 2 shown]
	s_swappc_b64 s[30:31], s[16:17]
	s_clause 0xe
	scratch_load_b32 v127, off, off offset:16
	scratch_load_b32 v128, off, off offset:32
	scratch_load_b128 v[0:3], off, off offset:272
	scratch_load_b128 v[4:7], off, off offset:32
	;; [unrolled: 1-line block ×6, first 2 shown]
	scratch_load_b32 v8, off, off offset:48
	scratch_load_b128 v[24:27], off, off offset:288
	scratch_load_b128 v[28:31], off, off offset:48
	;; [unrolled: 1-line block ×5, first 2 shown]
	scratch_load_b64 v[32:33], off, off offset:432
	s_waitcnt vmcnt(11)
	v_lshlrev_b16 v4, 8, v99
	s_waitcnt vmcnt(4)
	v_and_b32_e32 v28, 0xff, v98
	v_lshlrev_b16 v94, 8, v101
	v_and_b32_e32 v95, 0xff, v100
	v_and_b32_e32 v96, 0xffff, v108
	v_lshlrev_b32_e32 v97, 16, v109
	v_and_b32_e32 v98, 0xffff, v107
	v_lshlrev_b32_e32 v99, 16, v111
	v_lshlrev_b16 v104, 8, v104
	v_and_b32_e32 v105, 0xff, v105
	v_lshlrev_b16 v102, 8, v102
	v_and_b32_e32 v103, 0xff, v103
	v_or_b32_e32 v4, v28, v4
	v_or_b32_e32 v28, v95, v94
	;; [unrolled: 1-line block ×6, first 2 shown]
	v_and_b32_e32 v4, 0xffff, v4
	v_lshlrev_b32_e32 v28, 16, v28
	v_and_b32_e32 v100, 0xffff, v106
	v_lshlrev_b32_e32 v101, 16, v110
	;; [unrolled: 2-line block ×6, first 2 shown]
	v_or_b32_e32 v94, v4, v28
	v_or_b32_e32 v97, v100, v101
	v_or_b32_e32 v99, v106, v107
	v_or_b32_e32 v100, v108, v109
	v_or_b32_e32 v101, v110, v111
	v_or_b32_e32 v98, v102, v98
	v_dot4_i32_iu8 v0, v127, v128, v0 neg_lo:[1,1,0]
	v_dot4_i32_iu8 v1, v127, v5, v1 neg_lo:[1,1,0]
	;; [unrolled: 1-line block ×19, first 2 shown]
	s_waitcnt vmcnt(3)
	v_dot4_i32_iu8 v24, v9, v8, v82 neg_lo:[1,1,0]
	v_dot4_i32_iu8 v25, v9, v29, v83 neg_lo:[1,1,0]
	;; [unrolled: 1-line block ×4, first 2 shown]
	s_waitcnt vmcnt(0)
	v_add_co_u32 v28, vcc_lo, v32, v34
	v_dot4_i32_iu8 v16, v10, v128, v16 neg_lo:[1,1,0]
	v_dot4_i32_iu8 v82, v10, v8, v86 neg_lo:[1,1,0]
	v_dot4_i32_iu8 v83, v10, v29, v87 neg_lo:[1,1,0]
	v_dot4_i32_iu8 v84, v10, v30, v88 neg_lo:[1,1,0]
	v_dot4_i32_iu8 v85, v10, v31, v89 neg_lo:[1,1,0]
	v_dot4_i32_iu8 v8, v11, v8, v90 neg_lo:[1,1,0]
	v_dot4_i32_iu8 v9, v11, v29, v91 neg_lo:[1,1,0]
	v_dot4_i32_iu8 v10, v11, v30, v92 neg_lo:[1,1,0]
	v_dot4_i32_iu8 v11, v11, v31, v93 neg_lo:[1,1,0]
	v_add_co_ci_u32_e32 v29, vcc_lo, 0, v33, vcc_lo
	s_clause 0x7
	scratch_store_b128 off, v[0:3], off offset:272
	scratch_store_b128 off, v[20:23], off offset:288
	;; [unrolled: 1-line block ×8, first 2 shown]
	s_clause 0x1
	flat_store_b128 v[28:29], v[94:97]
	flat_store_b128 v[28:29], v[98:101] offset:512
	scratch_load_b64 v[8:9], off, off offset:448
	v_lshlrev_b16 v0, 8, v80
	v_and_b32_e32 v1, 0xff, v78
	v_lshlrev_b16 v2, 8, v81
	v_and_b32_e32 v3, 0xff, v79
	v_and_b32_e32 v4, 0xffff, v124
	v_lshlrev_b32_e32 v5, 16, v129
	v_and_b32_e32 v10, 0xffff, v116
	v_lshlrev_b32_e32 v11, 16, v119
	v_lshlrev_b16 v12, 8, v76
	v_and_b32_e32 v13, 0xff, v77
	v_lshlrev_b16 v14, 8, v36
	v_and_b32_e32 v15, 0xff, v74
	v_or_b32_e32 v0, v1, v0
	v_or_b32_e32 v77, v3, v2
	;; [unrolled: 1-line block ×6, first 2 shown]
	v_and_b32_e32 v6, 0xffff, v118
	v_lshlrev_b32_e32 v7, 16, v120
	v_and_b32_e32 v0, 0xffff, v0
	v_lshlrev_b32_e32 v11, 16, v77
	;; [unrolled: 2-line block ×6, first 2 shown]
	v_or_b32_e32 v2, v6, v7
	v_or_b32_e32 v0, v0, v11
	v_add_nc_u32_e32 v22, v75, v65
	v_or_b32_e32 v5, v16, v17
	v_or_b32_e32 v6, v18, v19
	;; [unrolled: 1-line block ×4, first 2 shown]
	v_add_nc_u32_e32 v24, v75, v64
	v_add_nc_u32_e32 v25, v75, v63
	;; [unrolled: 1-line block ×15, first 2 shown]
	s_waitcnt vmcnt(0)
	v_add_co_u32 v10, vcc_lo, v8, v34
	v_add_co_ci_u32_e32 v11, vcc_lo, 0, v9, vcc_lo
	s_clause 0x1
	flat_store_b128 v[10:11], v[0:3]
	flat_store_b128 v[10:11], v[4:7] offset:512
	s_clause 0x7
	buffer_load_b32 v94, v22, s[0:3], 0 offen
	buffer_load_b32 v95, v24, s[0:3], 0 offen
	;; [unrolled: 1-line block ×8, first 2 shown]
	s_clause 0x7
	buffer_load_b32 v102, v23, s[8:11], 0 offen
	buffer_load_b32 v103, v31, s[8:11], 0 offen
	;; [unrolled: 1-line block ×8, first 2 shown]
	s_waitcnt vmcnt(0) lgkmcnt(0)
	s_waitcnt_vscnt null, 0x0
	s_barrier
	s_clause 0x1
	scratch_load_b32 v0, off, off offset:80
	scratch_load_b32 v4, off, off offset:112
	s_clause 0x3
	scratch_store_b128 off, v[38:41], off
	scratch_store_b128 off, v[38:41], off offset:16
	scratch_store_b128 off, v[38:41], off offset:32
	;; [unrolled: 1-line block ×3, first 2 shown]
	v_lshrrev_b32_e32 v106, 24, v94
	v_lshrrev_b32_e32 v107, 16, v95
	v_and_b32_e32 v108, 0xffffff00, v95
	v_lshrrev_b16 v109, 8, v96
	v_lshrrev_b32_e32 v110, 16, v96
	v_lshrrev_b32_e32 v112, 16, v97
	v_and_b32_e32 v113, 0xffffff00, v97
	v_lshrrev_b32_e32 v114, 16, v98
	v_lshrrev_b32_e32 v116, 16, v99
	v_and_b32_e32 v117, 0xffffff00, v98
	v_lshrrev_b16 v118, 8, v99
	v_lshrrev_b32_e32 v119, 16, v100
	v_lshrrev_b32_e32 v121, 16, v101
	v_and_b32_e32 v122, 0xffffff00, v100
	v_lshrrev_b16 v123, 8, v101
	v_lshrrev_b16 v124, 8, v102
	v_lshrrev_b32_e32 v125, 16, v102
	s_waitcnt vmcnt(1)
	v_ashrrev_i32_e32 v1, 31, v0
	v_add_co_u32 v32, vcc_lo, v32, v0
	s_waitcnt vmcnt(0)
	v_ashrrev_i32_e32 v5, 31, v4
	v_lshrrev_b32_e32 v127, 16, v103
	v_add_co_ci_u32_e32 v33, vcc_lo, v33, v1, vcc_lo
	v_add_co_u32 v8, vcc_lo, v8, v4
	s_delay_alu instid0(VALU_DEP_4)
	v_add_co_ci_u32_e32 v9, vcc_lo, v9, v5, vcc_lo
	flat_load_b128 v[0:3], v[32:33]
	v_and_b32_e32 v128, 0xffffff00, v103
	v_lshrrev_b16 v129, 8, v104
	v_lshrrev_b32_e32 v130, 16, v104
	v_lshrrev_b32_e32 v132, 16, v105
	v_and_b32_e32 v133, 0xffffff00, v105
	v_lshrrev_b32_e32 v134, 16, v36
	v_lshrrev_b32_e32 v136, 16, v74
	v_and_b32_e32 v137, 0xffffff00, v36
	v_lshrrev_b16 v138, 8, v74
	v_lshrrev_b32_e32 v139, 16, v76
	v_lshrrev_b32_e32 v141, 16, v77
	;; [unrolled: 1-line block ×9, first 2 shown]
	v_and_b32_e32 v142, 0xffffff00, v76
	v_lshrrev_b16 v143, 8, v77
	v_and_b32_e32 v144, 0xffffff00, v107
	v_lshlrev_b16 v107, 8, v107
	v_or_b32_e32 v109, v109, v113
	v_and_b32_e32 v113, 0xffffff00, v114
	v_lshlrev_b16 v114, 8, v114
	v_and_b32_e32 v116, 0xff, v116
	v_or_b32_e32 v117, v118, v117
	v_and_b32_e32 v118, 0xffffff00, v119
	v_lshlrev_b16 v119, 8, v119
	v_and_b32_e32 v121, 0xff, v121
	v_or_b32_e32 v122, v123, v122
	v_and_b32_e32 v123, 0xff, v125
	v_and_b32_e32 v125, 0xffffff00, v127
	v_lshlrev_b16 v127, 8, v127
	v_or_b32_e32 v124, v124, v128
	v_and_b32_e32 v128, 0xff, v130
	v_and_b32_e32 v130, 0xffffff00, v132
	v_lshlrev_b16 v132, 8, v132
	v_or_b32_e32 v129, v129, v133
	v_and_b32_e32 v133, 0xffffff00, v134
	v_lshlrev_b16 v134, 8, v134
	v_and_b32_e32 v136, 0xff, v136
	v_or_b32_e32 v137, v138, v137
	v_and_b32_e32 v138, 0xffffff00, v139
	v_lshlrev_b16 v139, 8, v139
	v_and_b32_e32 v141, 0xff, v141
	v_or_b32_e32 v142, v143, v142
	v_or_b32_e32 v106, v106, v144
	s_waitcnt vmcnt(0) lgkmcnt(0)
	scratch_store_b128 off, v[0:3], off
	flat_load_b128 v[4:7], v[8:9]
	s_waitcnt vmcnt(0) lgkmcnt(0)
	scratch_store_b128 off, v[4:7], off offset:32
	flat_load_b128 v[8:11], v[8:9] offset:256
	s_clause 0x7
	scratch_load_b128 v[12:15], off, off offset:144
	scratch_load_b128 v[16:19], off, off offset:176
	;; [unrolled: 1-line block ×8, first 2 shown]
	s_waitcnt vmcnt(8) lgkmcnt(0)
	scratch_store_b128 off, v[8:11], off offset:48
	flat_load_b128 v[90:93], v[32:33] offset:256
	v_lshrrev_b16 v32, 8, v94
	v_lshrrev_b32_e32 v33, 16, v94
	s_waitcnt vmcnt(8)
	v_dot4_i32_iu8 v12, v0, v4, v12 neg_lo:[1,1,0]
	v_dot4_i32_iu8 v13, v0, v5, v13 neg_lo:[1,1,0]
	v_dot4_i32_iu8 v14, v0, v6, v14 neg_lo:[1,1,0]
	v_dot4_i32_iu8 v15, v0, v7, v15 neg_lo:[1,1,0]
	s_waitcnt vmcnt(7)
	v_dot4_i32_iu8 v16, v1, v4, v16 neg_lo:[1,1,0]
	v_dot4_i32_iu8 v17, v1, v5, v17 neg_lo:[1,1,0]
	v_dot4_i32_iu8 v18, v1, v6, v18 neg_lo:[1,1,0]
	v_dot4_i32_iu8 v19, v1, v7, v19 neg_lo:[1,1,0]
	;; [unrolled: 5-line block ×8, first 2 shown]
	v_mov_b32_e32 v11, s33
	v_and_b32_e32 v33, 0xff, v33
	v_or_b32_e32 v108, v32, v108
	v_and_b32_e32 v32, 0xff, v110
	v_and_b32_e32 v110, 0xffffff00, v112
	v_lshlrev_b16 v112, 8, v112
	v_dual_mov_b32 v8, s7 :: v_dual_mov_b32 v9, s21
	v_mov_b32_e32 v10, s25
	v_or_b32_e32 v107, v33, v107
	v_or_b32_e32 v110, v111, v110
	;; [unrolled: 1-line block ×15, first 2 shown]
	s_clause 0x7
	scratch_store_b128 off, v[12:15], off offset:144
	scratch_store_b128 off, v[24:27], off offset:160
	;; [unrolled: 1-line block ×8, first 2 shown]
	s_waitcnt vmcnt(0) lgkmcnt(0)
	scratch_store_b128 off, v[90:93], off offset:16
	v_dual_mov_b32 v0, s14 :: v_dual_mov_b32 v1, s15
	v_dual_mov_b32 v2, s24 :: v_dual_mov_b32 v3, s29
	;; [unrolled: 1-line block ×4, first 2 shown]
	s_swappc_b64 s[30:31], s[16:17]
	s_clause 0xe
	scratch_load_b32 v127, off, off offset:16
	scratch_load_b32 v128, off, off offset:32
	scratch_load_b128 v[0:3], off, off offset:272
	scratch_load_b128 v[4:7], off, off offset:32
	;; [unrolled: 1-line block ×6, first 2 shown]
	scratch_load_b32 v8, off, off offset:48
	scratch_load_b128 v[24:27], off, off offset:288
	scratch_load_b128 v[28:31], off, off offset:48
	;; [unrolled: 1-line block ×5, first 2 shown]
	scratch_load_b64 v[32:33], off, off offset:400
	s_waitcnt vmcnt(11)
	v_lshlrev_b16 v4, 8, v95
	s_waitcnt vmcnt(4)
	v_and_b32_e32 v28, 0xff, v94
	v_lshlrev_b16 v90, 8, v97
	v_and_b32_e32 v91, 0xff, v96
	v_and_b32_e32 v92, 0xffff, v108
	v_lshlrev_b32_e32 v93, 16, v109
	v_and_b32_e32 v94, 0xffff, v107
	v_lshlrev_b32_e32 v95, 16, v111
	v_lshlrev_b16 v100, 8, v100
	v_and_b32_e32 v101, 0xff, v101
	v_lshlrev_b16 v98, 8, v98
	v_and_b32_e32 v99, 0xff, v99
	v_or_b32_e32 v4, v28, v4
	v_or_b32_e32 v28, v91, v90
	;; [unrolled: 1-line block ×6, first 2 shown]
	v_and_b32_e32 v4, 0xffff, v4
	v_lshlrev_b32_e32 v28, 16, v28
	v_and_b32_e32 v96, 0xffff, v106
	v_lshlrev_b32_e32 v97, 16, v110
	v_and_b32_e32 v106, 0xffff, v122
	v_lshlrev_b32_e32 v107, 16, v117
	v_and_b32_e32 v108, 0xffff, v115
	v_lshlrev_b32_e32 v109, 16, v113
	v_and_b32_e32 v110, 0xffff, v114
	v_lshlrev_b32_e32 v111, 16, v112
	v_and_b32_e32 v98, 0xffff, v90
	v_lshlrev_b32_e32 v94, 16, v94
	v_or_b32_e32 v90, v4, v28
	v_or_b32_e32 v93, v96, v97
	;; [unrolled: 1-line block ×6, first 2 shown]
	v_add_nc_u32_e32 v42, s37, v42
	v_add_nc_u32_e32 v43, s37, v43
	;; [unrolled: 1-line block ×32, first 2 shown]
	s_add_i32 s12, s12, 32
	s_delay_alu instid0(SALU_CYCLE_1)
	s_cmp_lt_i32 s12, s36
	v_dot4_i32_iu8 v0, v127, v128, v0 neg_lo:[1,1,0]
	v_dot4_i32_iu8 v1, v127, v5, v1 neg_lo:[1,1,0]
	;; [unrolled: 1-line block ×19, first 2 shown]
	s_waitcnt vmcnt(3)
	v_dot4_i32_iu8 v24, v9, v8, v78 neg_lo:[1,1,0]
	v_dot4_i32_iu8 v25, v9, v29, v79 neg_lo:[1,1,0]
	;; [unrolled: 1-line block ×4, first 2 shown]
	s_waitcnt vmcnt(0)
	v_add_co_u32 v28, vcc_lo, v32, v34
	v_dot4_i32_iu8 v16, v10, v128, v16 neg_lo:[1,1,0]
	v_dot4_i32_iu8 v78, v10, v8, v82 neg_lo:[1,1,0]
	;; [unrolled: 1-line block ×9, first 2 shown]
	v_add_co_ci_u32_e32 v29, vcc_lo, 0, v33, vcc_lo
	s_clause 0x7
	scratch_store_b128 off, v[0:3], off offset:272
	scratch_store_b128 off, v[20:23], off offset:288
	;; [unrolled: 1-line block ×8, first 2 shown]
	s_clause 0x1
	flat_store_b128 v[28:29], v[90:93]
	flat_store_b128 v[28:29], v[94:97] offset:512
	scratch_load_b64 v[8:9], off, off offset:416
	v_lshlrev_b16 v0, 8, v103
	v_and_b32_e32 v1, 0xff, v102
	v_lshlrev_b16 v2, 8, v105
	v_and_b32_e32 v3, 0xff, v104
	v_and_b32_e32 v4, 0xffff, v124
	v_lshlrev_b32_e32 v5, 16, v129
	v_and_b32_e32 v10, 0xffff, v116
	v_lshlrev_b32_e32 v11, 16, v119
	v_lshlrev_b16 v12, 8, v76
	v_and_b32_e32 v13, 0xff, v77
	v_lshlrev_b16 v14, 8, v36
	v_and_b32_e32 v15, 0xff, v74
	v_or_b32_e32 v0, v1, v0
	v_or_b32_e32 v22, v3, v2
	;; [unrolled: 1-line block ×6, first 2 shown]
	v_and_b32_e32 v6, 0xffff, v118
	v_lshlrev_b32_e32 v7, 16, v120
	v_and_b32_e32 v0, 0xffff, v0
	v_lshlrev_b32_e32 v11, 16, v22
	;; [unrolled: 2-line block ×6, first 2 shown]
	v_or_b32_e32 v2, v6, v7
	v_or_b32_e32 v0, v0, v11
	v_or_b32_e32 v5, v16, v17
	v_or_b32_e32 v6, v18, v19
	v_or_b32_e32 v7, v20, v21
	v_or_b32_e32 v4, v4, v10
	s_waitcnt vmcnt(0)
	v_add_co_u32 v8, vcc_lo, v8, v34
	v_add_co_ci_u32_e32 v9, vcc_lo, 0, v9, vcc_lo
	s_clause 0x1
	flat_store_b128 v[8:9], v[0:3]
	flat_store_b128 v[8:9], v[4:7] offset:512
	s_cbranch_scc1 .LBB3_1
; %bb.2:
	s_waitcnt lgkmcnt(0)
	s_waitcnt_vscnt null, 0x0
	s_barrier
	buffer_gl0_inv
	s_clause 0x1
	scratch_load_b32 v8, off, off offset:80
	scratch_load_b64 v[4:5], off, off offset:400
	s_mov_b32 s0, 0
	s_clause 0x1
	scratch_load_b32 v9, off, off offset:112
	scratch_load_b64 v[6:7], off, off offset:416
	s_mov_b32 s1, s0
	s_mov_b32 s2, s0
	;; [unrolled: 1-line block ×3, first 2 shown]
	v_dual_mov_b32 v0, s0 :: v_dual_mov_b32 v1, s1
	v_dual_mov_b32 v2, s2 :: v_dual_mov_b32 v3, s3
	s_clause 0x3
	scratch_store_b128 off, v[0:3], off
	scratch_store_b128 off, v[0:3], off offset:16
	scratch_store_b128 off, v[0:3], off offset:32
	;; [unrolled: 1-line block ×3, first 2 shown]
	s_mov_b64 s[0:1], src_private_base
	s_waitcnt vmcnt(3)
	v_ashrrev_i32_e32 v10, 31, v8
	s_waitcnt vmcnt(2)
	v_add_co_u32 v32, vcc_lo, v4, v8
	s_waitcnt vmcnt(1)
	v_ashrrev_i32_e32 v4, 31, v9
	v_add_co_ci_u32_e32 v33, vcc_lo, v5, v10, vcc_lo
	s_waitcnt vmcnt(0)
	v_add_co_u32 v8, vcc_lo, v6, v9
	s_delay_alu instid0(VALU_DEP_3)
	v_add_co_ci_u32_e32 v9, vcc_lo, v7, v4, vcc_lo
	flat_load_b128 v[0:3], v[32:33]
	s_waitcnt vmcnt(0) lgkmcnt(0)
	scratch_store_b128 off, v[0:3], off
	flat_load_b128 v[4:7], v[8:9]
	s_waitcnt vmcnt(0) lgkmcnt(0)
	scratch_store_b128 off, v[4:7], off offset:32
	flat_load_b128 v[8:11], v[8:9] offset:256
	s_clause 0x7
	scratch_load_b128 v[12:15], off, off offset:144
	scratch_load_b128 v[16:19], off, off offset:176
	;; [unrolled: 1-line block ×8, first 2 shown]
	s_waitcnt vmcnt(8) lgkmcnt(0)
	scratch_store_b128 off, v[8:11], off offset:48
	flat_load_b128 v[50:53], v[32:33] offset:256
	s_waitcnt vmcnt(8)
	v_dot4_i32_iu8 v12, v0, v4, v12 neg_lo:[1,1,0]
	v_dot4_i32_iu8 v13, v0, v5, v13 neg_lo:[1,1,0]
	v_dot4_i32_iu8 v14, v0, v6, v14 neg_lo:[1,1,0]
	v_dot4_i32_iu8 v15, v0, v7, v15 neg_lo:[1,1,0]
	s_waitcnt vmcnt(7)
	v_dot4_i32_iu8 v16, v1, v4, v16 neg_lo:[1,1,0]
	v_dot4_i32_iu8 v17, v1, v5, v17 neg_lo:[1,1,0]
	v_dot4_i32_iu8 v18, v1, v6, v18 neg_lo:[1,1,0]
	v_dot4_i32_iu8 v19, v1, v7, v19 neg_lo:[1,1,0]
	;; [unrolled: 5-line block ×8, first 2 shown]
	v_mov_b32_e32 v8, s7
	v_dual_mov_b32 v10, s13 :: v_dual_mov_b32 v11, s19
	s_clause 0x7
	scratch_store_b128 off, v[12:15], off offset:144
	scratch_store_b128 off, v[24:27], off offset:160
	;; [unrolled: 1-line block ×8, first 2 shown]
	s_waitcnt vmcnt(0) lgkmcnt(0)
	scratch_store_b128 off, v[50:53], off offset:16
	v_dual_mov_b32 v0, s14 :: v_dual_mov_b32 v1, s15
	v_dual_mov_b32 v2, s18 :: v_dual_mov_b32 v3, s23
	;; [unrolled: 1-line block ×4, first 2 shown]
	v_mov_b32_e32 v7, s1
	s_swappc_b64 s[30:31], s[16:17]
	s_clause 0x15
	scratch_load_b32 v32, off, off offset:16
	scratch_load_b32 v33, off, off offset:32
	scratch_load_b128 v[0:3], off, off offset:272
	scratch_load_b128 v[4:7], off, off offset:32
	;; [unrolled: 1-line block ×6, first 2 shown]
	scratch_load_b32 v4, off, off offset:48
	scratch_load_b128 v[24:27], off, off offset:288
	scratch_load_b128 v[28:31], off, off offset:48
	;; [unrolled: 1-line block ×13, first 2 shown]
	s_waitcnt vmcnt(11)
	v_add_nc_u32_e32 v28, s22, v35
	s_lshl_b32 s0, s28, 6
	s_mov_b32 s7, 0x31004000
	s_delay_alu instid0(VALU_DEP_1) | instskip(NEXT) | instid1(VALU_DEP_1)
	v_mul_lo_u32 v28, v28, s28
	v_add3_u32 v28, s20, v37, v28
	v_dot4_i32_iu8 v24, v32, v4, v24 neg_lo:[1,1,0]
	v_dot4_i32_iu8 v25, v32, v29, v25 neg_lo:[1,1,0]
	;; [unrolled: 1-line block ×4, first 2 shown]
	s_waitcnt vmcnt(8)
	v_dot4_i32_iu8 v46, v11, v4, v46 neg_lo:[1,1,0]
	v_dot4_i32_iu8 v47, v11, v29, v47 neg_lo:[1,1,0]
	;; [unrolled: 1-line block ×23, first 2 shown]
	s_clause 0x1
	scratch_store_b128 off, v[20:23], off offset:368
	scratch_store_b128 off, v[46:49], off offset:384
	v_dot4_i32_iu8 v39, v9, v29, v39 neg_lo:[1,1,0]
	v_dot4_i32_iu8 v40, v9, v30, v40 neg_lo:[1,1,0]
	;; [unrolled: 1-line block ×5, first 2 shown]
	s_clause 0x1
	scratch_load_b128 v[20:23], off, off offset:368
	scratch_load_b128 v[46:49], off, off offset:384
	s_clause 0x1
	scratch_store_b128 off, v[16:19], off offset:336
	scratch_store_b128 off, v[42:45], off offset:352
	s_clause 0x1
	scratch_load_b128 v[16:19], off, off offset:352
	scratch_load_b128 v[8:11], off, off offset:336
	s_clause 0x1
	scratch_store_b128 off, v[12:15], off offset:304
	scratch_store_b128 off, v[38:41], off offset:320
	;; [unrolled: 6-line block ×3, first 2 shown]
	s_clause 0x1
	scratch_load_b128 v[24:27], off, off offset:288
	scratch_load_b128 v[0:3], off, off offset:272
	v_add_nc_u32_e32 v29, s28, v28
	s_waitcnt vmcnt(15)
	v_lshlrev_b32_e32 v40, 8, v51
	v_lshlrev_b32_e32 v41, 16, v52
	s_waitcnt vmcnt(14)
	v_lshlrev_b32_e32 v43, 8, v55
	v_lshlrev_b32_e32 v44, 16, v56
	v_add_nc_u32_e32 v30, s28, v29
	s_waitcnt vmcnt(13)
	v_lshlrev_b32_e32 v51, 8, v59
	v_lshlrev_b32_e32 v52, 16, v60
	s_waitcnt vmcnt(12)
	v_lshlrev_b32_e32 v55, 8, v63
	v_lshlrev_b32_e32 v56, 16, v64
	v_add_nc_u32_e32 v31, 64, v30
	s_waitcnt vmcnt(11)
	v_lshlrev_b32_e32 v59, 8, v67
	v_lshlrev_b32_e32 v60, 16, v68
	;; [unrolled: 1-line block ×3, first 2 shown]
	s_waitcnt vmcnt(10)
	v_lshlrev_b32_e32 v63, 8, v71
	v_lshlrev_b32_e32 v64, 16, v72
	s_waitcnt vmcnt(9)
	v_lshlrev_b32_e32 v67, 8, v75
	v_lshlrev_b32_e32 v68, 16, v76
	;; [unrolled: 3-line block ×3, first 2 shown]
	v_perm_b32 v40, v40, v50, 0xc0c0500
	v_and_b32_e32 v41, 0xff0000, v41
	v_lshlrev_b32_e32 v45, 24, v57
	v_perm_b32 v43, v43, v54, 0xc0c0500
	v_and_b32_e32 v44, 0xff0000, v44
	v_lshlrev_b32_e32 v53, 24, v61
	;; [unrolled: 3-line block ×3, first 2 shown]
	v_perm_b32 v52, v55, v62, 0xc0c0500
	v_and_b32_e32 v54, 0xff0000, v56
	v_add_nc_u32_e32 v32, s0, v31
	v_lshlrev_b32_e32 v61, 24, v69
	v_perm_b32 v55, v59, v66, 0xc0c0500
	v_and_b32_e32 v56, 0xff0000, v60
	v_lshlrev_b32_e32 v65, 24, v73
	v_lshlrev_b32_e32 v69, 24, v77
	;; [unrolled: 1-line block ×3, first 2 shown]
	v_perm_b32 v58, v63, v70, 0xc0c0500
	v_and_b32_e32 v59, 0xff0000, v64
	v_perm_b32 v60, v67, v74, 0xc0c0500
	v_and_b32_e32 v62, 0xff0000, v68
	;; [unrolled: 2-line block ×3, first 2 shown]
	v_or3_b32 v40, v40, v41, v42
	v_or3_b32 v41, v43, v44, v45
	v_add_nc_u32_e32 v37, 64, v29
	v_or3_b32 v42, v50, v51, v53
	v_or3_b32 v43, v52, v54, v57
	v_subrev_nc_u32_e32 v33, 64, v32
	v_or3_b32 v44, v55, v56, v61
	v_add_nc_u32_e32 v35, s28, v30
	v_add_nc_u32_e32 v31, s28, v31
	v_or3_b32 v45, v58, v59, v65
	v_or3_b32 v50, v60, v62, v69
	v_or3_b32 v51, v63, v64, v73
	s_clause 0x7
	buffer_store_b32 v40, v28, s[4:7], 0 offen
	buffer_store_b32 v41, v28, s[4:7], 0 offen offset:64
	buffer_store_b32 v42, v37, s[4:7], 0 offen
	buffer_store_b32 v43, v29, s[4:7], 0 offen
	buffer_store_b32 v44, v30, s[4:7], 0 offen
	buffer_store_b32 v45, v30, s[4:7], 0 offen offset:64
	buffer_store_b32 v50, v31, s[4:7], 0 offen
	buffer_store_b32 v51, v35, s[4:7], 0 offen
	v_subrev_nc_u32_e32 v34, s28, v33
	v_add_nc_u32_e32 v38, s0, v35
	s_delay_alu instid0(VALU_DEP_2) | instskip(NEXT) | instid1(VALU_DEP_1)
	v_subrev_nc_u32_e32 v36, s28, v34
	v_add_nc_u32_e32 v39, 64, v36
	s_waitcnt vmcnt(7)
	v_lshlrev_b32_e32 v21, 8, v21
	v_lshlrev_b32_e32 v22, 16, v22
	s_waitcnt vmcnt(6)
	v_lshlrev_b32_e32 v28, 8, v47
	v_lshlrev_b32_e32 v29, 16, v48
	;; [unrolled: 3-line block ×5, first 2 shown]
	v_lshlrev_b32_e32 v23, 24, v23
	s_waitcnt vmcnt(2)
	v_lshlrev_b32_e32 v5, 8, v5
	v_lshlrev_b32_e32 v6, 16, v6
	s_waitcnt vmcnt(1)
	v_lshlrev_b32_e32 v25, 8, v25
	;; [unrolled: 3-line block ×3, first 2 shown]
	v_lshlrev_b32_e32 v2, 16, v2
	v_perm_b32 v20, v21, v20, 0xc0c0500
	v_and_b32_e32 v21, 0xff0000, v22
	v_lshlrev_b32_e32 v30, 24, v49
	v_perm_b32 v22, v28, v46, 0xc0c0500
	v_and_b32_e32 v28, 0xff0000, v29
	;; [unrolled: 3-line block ×5, first 2 shown]
	v_lshlrev_b32_e32 v7, 24, v7
	v_lshlrev_b32_e32 v27, 24, v27
	;; [unrolled: 1-line block ×3, first 2 shown]
	v_perm_b32 v4, v5, v4, 0xc0c0500
	v_and_b32_e32 v5, 0xff0000, v6
	v_perm_b32 v6, v25, v24, 0xc0c0500
	v_and_b32_e32 v13, 0xff0000, v26
	;; [unrolled: 2-line block ×3, first 2 shown]
	v_or3_b32 v2, v20, v21, v23
	v_or3_b32 v14, v22, v28, v30
	;; [unrolled: 1-line block ×8, first 2 shown]
	s_clause 0x7
	buffer_store_b32 v2, v38, s[4:7], 0 offen
	buffer_store_b32 v14, v38, s[4:7], 0 offen offset:64
	buffer_store_b32 v16, v32, s[4:7], 0 offen
	buffer_store_b32 v8, v33, s[4:7], 0 offen
	;; [unrolled: 1-line block ×3, first 2 shown]
	buffer_store_b32 v4, v34, s[4:7], 0 offen offset:64
	buffer_store_b32 v5, v39, s[4:7], 0 offen
	buffer_store_b32 v0, v36, s[4:7], 0 offen
	s_endpgm
	.section	.rodata,"a",@progbits
	.p2align	6, 0x0
	.amdhsa_kernel _ZN2ck19kernel_gemm_dl_v1r3INS_28GridwiseGemmDl_km_kn_mn_v1r3ILi256EaiaLNS_25InMemoryDataOperationEnumE0ENS_16TensorDescriptorINS_5TupleIJNS_5EmbedINS4_IJiiEEENS4_IJNS_17integral_constantIiLi1EEEiEEELb0EEENS_7UnMergeINS4_IJiNS7_IiLi4EEEEEELb0EEENS_11PassThroughIiEEEEENS4_IJNS_8SequenceIJLi0EEEENSI_IJLi2EEEENSI_IJLi1EEEEEEENS4_IJNSI_IJLi1ELi2EEEENSI_IJLi3ELi4EEEENSI_IJLi5EEEEEEENSI_IJLi3ELi5ELi4EEEElEENS3_INS4_IJNS5_IS6_NS4_IJiS8_EEELb0EEESE_SG_EEENS4_IJSJ_SL_SK_EEESQ_SR_lEENS3_INS4_IJSU_SG_SG_EEESW_NS4_IJSN_NSI_IJLi3EEEENSI_IJLi4EEEEEEESO_lEELi128ELi128ELi16ELi4ELi4ELi4ELi1ENSI_IJLi8ELi2EEEES13_NSI_IJLi2ELi1ELi4ELi4EEEENSI_IJLi8ELi1ELi32ELi1EEEENSI_IJLi0ELi3ELi1ELi2EEEES16_NSI_IJLi1ELi1ELi4ELi1EEEES16_NSI_IJLi1ELi1ELi4ELi4EEEES14_S15_S16_S16_S17_S16_S18_NSI_IJLi0ELi1ELi2ELi3ELi4ELi5EEEELi5ELi4EEEaaNS3_INS4_IJSA_SE_SG_SG_NSB_INS4_IJiNS7_IiLi128EEEEEELb0EEENSF_ISC_EEEEENS4_IJSJ_SK_SL_SZ_SP_S10_EEENS4_IJSN_SO_SP_NSI_IJLi6EEEENSI_IJLi7ELi8EEEENSI_IJLi9EEEEEEENSI_IJLi6ELi7ELi8ELi9EEEElEENS3_INS4_IJSU_SE_SG_SG_S1D_S1E_EEENS4_IJSJ_SL_SK_SZ_SP_S10_EEES1K_S1L_lEENS3_INS4_IJSU_SG_SG_NSB_INS4_IJiNS7_IiLi2EEENS7_IiLi64EEEEEELb0EEES1T_EEENS4_IJSJ_SL_SK_SZ_S10_EEENS4_IJSN_SZ_S10_NSI_IJLi5ELi6ELi7EEEENSI_IJLi8ELi9ELi10EEEEEEENSI_IJLi5ELi6ELi7ELi8ELi9ELi10EEEElEENS_31BlockToCTileMap_M00_N00_M01_N01ILi128ELi128ES12_Lb0EEELb1ELb0EEEvPKT0_S25_PT1_T2_T3_T4_T5_
		.amdhsa_group_segment_fixed_size 32768
		.amdhsa_private_segment_fixed_size 480
		.amdhsa_kernarg_size 328
		.amdhsa_user_sgpr_count 15
		.amdhsa_user_sgpr_dispatch_ptr 0
		.amdhsa_user_sgpr_queue_ptr 0
		.amdhsa_user_sgpr_kernarg_segment_ptr 1
		.amdhsa_user_sgpr_dispatch_id 0
		.amdhsa_user_sgpr_private_segment_size 0
		.amdhsa_wavefront_size32 1
		.amdhsa_uses_dynamic_stack 0
		.amdhsa_enable_private_segment 1
		.amdhsa_system_sgpr_workgroup_id_x 1
		.amdhsa_system_sgpr_workgroup_id_y 0
		.amdhsa_system_sgpr_workgroup_id_z 0
		.amdhsa_system_sgpr_workgroup_info 0
		.amdhsa_system_vgpr_workitem_id 0
		.amdhsa_next_free_vgpr 145
		.amdhsa_next_free_sgpr 44
		.amdhsa_reserve_vcc 1
		.amdhsa_float_round_mode_32 0
		.amdhsa_float_round_mode_16_64 0
		.amdhsa_float_denorm_mode_32 3
		.amdhsa_float_denorm_mode_16_64 3
		.amdhsa_dx10_clamp 1
		.amdhsa_ieee_mode 1
		.amdhsa_fp16_overflow 0
		.amdhsa_workgroup_processor_mode 1
		.amdhsa_memory_ordered 1
		.amdhsa_forward_progress 0
		.amdhsa_shared_vgpr_count 0
		.amdhsa_exception_fp_ieee_invalid_op 0
		.amdhsa_exception_fp_denorm_src 0
		.amdhsa_exception_fp_ieee_div_zero 0
		.amdhsa_exception_fp_ieee_overflow 0
		.amdhsa_exception_fp_ieee_underflow 0
		.amdhsa_exception_fp_ieee_inexact 0
		.amdhsa_exception_int_div_zero 0
	.end_amdhsa_kernel
	.section	.text._ZN2ck19kernel_gemm_dl_v1r3INS_28GridwiseGemmDl_km_kn_mn_v1r3ILi256EaiaLNS_25InMemoryDataOperationEnumE0ENS_16TensorDescriptorINS_5TupleIJNS_5EmbedINS4_IJiiEEENS4_IJNS_17integral_constantIiLi1EEEiEEELb0EEENS_7UnMergeINS4_IJiNS7_IiLi4EEEEEELb0EEENS_11PassThroughIiEEEEENS4_IJNS_8SequenceIJLi0EEEENSI_IJLi2EEEENSI_IJLi1EEEEEEENS4_IJNSI_IJLi1ELi2EEEENSI_IJLi3ELi4EEEENSI_IJLi5EEEEEEENSI_IJLi3ELi5ELi4EEEElEENS3_INS4_IJNS5_IS6_NS4_IJiS8_EEELb0EEESE_SG_EEENS4_IJSJ_SL_SK_EEESQ_SR_lEENS3_INS4_IJSU_SG_SG_EEESW_NS4_IJSN_NSI_IJLi3EEEENSI_IJLi4EEEEEEESO_lEELi128ELi128ELi16ELi4ELi4ELi4ELi1ENSI_IJLi8ELi2EEEES13_NSI_IJLi2ELi1ELi4ELi4EEEENSI_IJLi8ELi1ELi32ELi1EEEENSI_IJLi0ELi3ELi1ELi2EEEES16_NSI_IJLi1ELi1ELi4ELi1EEEES16_NSI_IJLi1ELi1ELi4ELi4EEEES14_S15_S16_S16_S17_S16_S18_NSI_IJLi0ELi1ELi2ELi3ELi4ELi5EEEELi5ELi4EEEaaNS3_INS4_IJSA_SE_SG_SG_NSB_INS4_IJiNS7_IiLi128EEEEEELb0EEENSF_ISC_EEEEENS4_IJSJ_SK_SL_SZ_SP_S10_EEENS4_IJSN_SO_SP_NSI_IJLi6EEEENSI_IJLi7ELi8EEEENSI_IJLi9EEEEEEENSI_IJLi6ELi7ELi8ELi9EEEElEENS3_INS4_IJSU_SE_SG_SG_S1D_S1E_EEENS4_IJSJ_SL_SK_SZ_SP_S10_EEES1K_S1L_lEENS3_INS4_IJSU_SG_SG_NSB_INS4_IJiNS7_IiLi2EEENS7_IiLi64EEEEEELb0EEES1T_EEENS4_IJSJ_SL_SK_SZ_S10_EEENS4_IJSN_SZ_S10_NSI_IJLi5ELi6ELi7EEEENSI_IJLi8ELi9ELi10EEEEEEENSI_IJLi5ELi6ELi7ELi8ELi9ELi10EEEElEENS_31BlockToCTileMap_M00_N00_M01_N01ILi128ELi128ES12_Lb0EEELb1ELb0EEEvPKT0_S25_PT1_T2_T3_T4_T5_,"axG",@progbits,_ZN2ck19kernel_gemm_dl_v1r3INS_28GridwiseGemmDl_km_kn_mn_v1r3ILi256EaiaLNS_25InMemoryDataOperationEnumE0ENS_16TensorDescriptorINS_5TupleIJNS_5EmbedINS4_IJiiEEENS4_IJNS_17integral_constantIiLi1EEEiEEELb0EEENS_7UnMergeINS4_IJiNS7_IiLi4EEEEEELb0EEENS_11PassThroughIiEEEEENS4_IJNS_8SequenceIJLi0EEEENSI_IJLi2EEEENSI_IJLi1EEEEEEENS4_IJNSI_IJLi1ELi2EEEENSI_IJLi3ELi4EEEENSI_IJLi5EEEEEEENSI_IJLi3ELi5ELi4EEEElEENS3_INS4_IJNS5_IS6_NS4_IJiS8_EEELb0EEESE_SG_EEENS4_IJSJ_SL_SK_EEESQ_SR_lEENS3_INS4_IJSU_SG_SG_EEESW_NS4_IJSN_NSI_IJLi3EEEENSI_IJLi4EEEEEEESO_lEELi128ELi128ELi16ELi4ELi4ELi4ELi1ENSI_IJLi8ELi2EEEES13_NSI_IJLi2ELi1ELi4ELi4EEEENSI_IJLi8ELi1ELi32ELi1EEEENSI_IJLi0ELi3ELi1ELi2EEEES16_NSI_IJLi1ELi1ELi4ELi1EEEES16_NSI_IJLi1ELi1ELi4ELi4EEEES14_S15_S16_S16_S17_S16_S18_NSI_IJLi0ELi1ELi2ELi3ELi4ELi5EEEELi5ELi4EEEaaNS3_INS4_IJSA_SE_SG_SG_NSB_INS4_IJiNS7_IiLi128EEEEEELb0EEENSF_ISC_EEEEENS4_IJSJ_SK_SL_SZ_SP_S10_EEENS4_IJSN_SO_SP_NSI_IJLi6EEEENSI_IJLi7ELi8EEEENSI_IJLi9EEEEEEENSI_IJLi6ELi7ELi8ELi9EEEElEENS3_INS4_IJSU_SE_SG_SG_S1D_S1E_EEENS4_IJSJ_SL_SK_SZ_SP_S10_EEES1K_S1L_lEENS3_INS4_IJSU_SG_SG_NSB_INS4_IJiNS7_IiLi2EEENS7_IiLi64EEEEEELb0EEES1T_EEENS4_IJSJ_SL_SK_SZ_S10_EEENS4_IJSN_SZ_S10_NSI_IJLi5ELi6ELi7EEEENSI_IJLi8ELi9ELi10EEEEEEENSI_IJLi5ELi6ELi7ELi8ELi9ELi10EEEElEENS_31BlockToCTileMap_M00_N00_M01_N01ILi128ELi128ES12_Lb0EEELb1ELb0EEEvPKT0_S25_PT1_T2_T3_T4_T5_,comdat
.Lfunc_end3:
	.size	_ZN2ck19kernel_gemm_dl_v1r3INS_28GridwiseGemmDl_km_kn_mn_v1r3ILi256EaiaLNS_25InMemoryDataOperationEnumE0ENS_16TensorDescriptorINS_5TupleIJNS_5EmbedINS4_IJiiEEENS4_IJNS_17integral_constantIiLi1EEEiEEELb0EEENS_7UnMergeINS4_IJiNS7_IiLi4EEEEEELb0EEENS_11PassThroughIiEEEEENS4_IJNS_8SequenceIJLi0EEEENSI_IJLi2EEEENSI_IJLi1EEEEEEENS4_IJNSI_IJLi1ELi2EEEENSI_IJLi3ELi4EEEENSI_IJLi5EEEEEEENSI_IJLi3ELi5ELi4EEEElEENS3_INS4_IJNS5_IS6_NS4_IJiS8_EEELb0EEESE_SG_EEENS4_IJSJ_SL_SK_EEESQ_SR_lEENS3_INS4_IJSU_SG_SG_EEESW_NS4_IJSN_NSI_IJLi3EEEENSI_IJLi4EEEEEEESO_lEELi128ELi128ELi16ELi4ELi4ELi4ELi1ENSI_IJLi8ELi2EEEES13_NSI_IJLi2ELi1ELi4ELi4EEEENSI_IJLi8ELi1ELi32ELi1EEEENSI_IJLi0ELi3ELi1ELi2EEEES16_NSI_IJLi1ELi1ELi4ELi1EEEES16_NSI_IJLi1ELi1ELi4ELi4EEEES14_S15_S16_S16_S17_S16_S18_NSI_IJLi0ELi1ELi2ELi3ELi4ELi5EEEELi5ELi4EEEaaNS3_INS4_IJSA_SE_SG_SG_NSB_INS4_IJiNS7_IiLi128EEEEEELb0EEENSF_ISC_EEEEENS4_IJSJ_SK_SL_SZ_SP_S10_EEENS4_IJSN_SO_SP_NSI_IJLi6EEEENSI_IJLi7ELi8EEEENSI_IJLi9EEEEEEENSI_IJLi6ELi7ELi8ELi9EEEElEENS3_INS4_IJSU_SE_SG_SG_S1D_S1E_EEENS4_IJSJ_SL_SK_SZ_SP_S10_EEES1K_S1L_lEENS3_INS4_IJSU_SG_SG_NSB_INS4_IJiNS7_IiLi2EEENS7_IiLi64EEEEEELb0EEES1T_EEENS4_IJSJ_SL_SK_SZ_S10_EEENS4_IJSN_SZ_S10_NSI_IJLi5ELi6ELi7EEEENSI_IJLi8ELi9ELi10EEEEEEENSI_IJLi5ELi6ELi7ELi8ELi9ELi10EEEElEENS_31BlockToCTileMap_M00_N00_M01_N01ILi128ELi128ES12_Lb0EEELb1ELb0EEEvPKT0_S25_PT1_T2_T3_T4_T5_, .Lfunc_end3-_ZN2ck19kernel_gemm_dl_v1r3INS_28GridwiseGemmDl_km_kn_mn_v1r3ILi256EaiaLNS_25InMemoryDataOperationEnumE0ENS_16TensorDescriptorINS_5TupleIJNS_5EmbedINS4_IJiiEEENS4_IJNS_17integral_constantIiLi1EEEiEEELb0EEENS_7UnMergeINS4_IJiNS7_IiLi4EEEEEELb0EEENS_11PassThroughIiEEEEENS4_IJNS_8SequenceIJLi0EEEENSI_IJLi2EEEENSI_IJLi1EEEEEEENS4_IJNSI_IJLi1ELi2EEEENSI_IJLi3ELi4EEEENSI_IJLi5EEEEEEENSI_IJLi3ELi5ELi4EEEElEENS3_INS4_IJNS5_IS6_NS4_IJiS8_EEELb0EEESE_SG_EEENS4_IJSJ_SL_SK_EEESQ_SR_lEENS3_INS4_IJSU_SG_SG_EEESW_NS4_IJSN_NSI_IJLi3EEEENSI_IJLi4EEEEEEESO_lEELi128ELi128ELi16ELi4ELi4ELi4ELi1ENSI_IJLi8ELi2EEEES13_NSI_IJLi2ELi1ELi4ELi4EEEENSI_IJLi8ELi1ELi32ELi1EEEENSI_IJLi0ELi3ELi1ELi2EEEES16_NSI_IJLi1ELi1ELi4ELi1EEEES16_NSI_IJLi1ELi1ELi4ELi4EEEES14_S15_S16_S16_S17_S16_S18_NSI_IJLi0ELi1ELi2ELi3ELi4ELi5EEEELi5ELi4EEEaaNS3_INS4_IJSA_SE_SG_SG_NSB_INS4_IJiNS7_IiLi128EEEEEELb0EEENSF_ISC_EEEEENS4_IJSJ_SK_SL_SZ_SP_S10_EEENS4_IJSN_SO_SP_NSI_IJLi6EEEENSI_IJLi7ELi8EEEENSI_IJLi9EEEEEEENSI_IJLi6ELi7ELi8ELi9EEEElEENS3_INS4_IJSU_SE_SG_SG_S1D_S1E_EEENS4_IJSJ_SL_SK_SZ_SP_S10_EEES1K_S1L_lEENS3_INS4_IJSU_SG_SG_NSB_INS4_IJiNS7_IiLi2EEENS7_IiLi64EEEEEELb0EEES1T_EEENS4_IJSJ_SL_SK_SZ_S10_EEENS4_IJSN_SZ_S10_NSI_IJLi5ELi6ELi7EEEENSI_IJLi8ELi9ELi10EEEEEEENSI_IJLi5ELi6ELi7ELi8ELi9ELi10EEEElEENS_31BlockToCTileMap_M00_N00_M01_N01ILi128ELi128ES12_Lb0EEELb1ELb0EEEvPKT0_S25_PT1_T2_T3_T4_T5_
                                        ; -- End function
	.section	.AMDGPU.csdata,"",@progbits
; Kernel info:
; codeLenInByte = 9584
; NumSgprs: 46
; NumVgprs: 145
; ScratchSize: 480
; MemoryBound: 0
; FloatMode: 240
; IeeeMode: 1
; LDSByteSize: 32768 bytes/workgroup (compile time only)
; SGPRBlocks: 5
; VGPRBlocks: 18
; NumSGPRsForWavesPerEU: 46
; NumVGPRsForWavesPerEU: 145
; Occupancy: 8
; WaveLimiterHint : 1
; COMPUTE_PGM_RSRC2:SCRATCH_EN: 1
; COMPUTE_PGM_RSRC2:USER_SGPR: 15
; COMPUTE_PGM_RSRC2:TRAP_HANDLER: 0
; COMPUTE_PGM_RSRC2:TGID_X_EN: 1
; COMPUTE_PGM_RSRC2:TGID_Y_EN: 0
; COMPUTE_PGM_RSRC2:TGID_Z_EN: 0
; COMPUTE_PGM_RSRC2:TIDIG_COMP_CNT: 0
	.section	.text._ZN2ck19kernel_gemm_dl_v1r3INS_28GridwiseGemmDl_km_kn_mn_v1r3ILi256EaiaLNS_25InMemoryDataOperationEnumE0ENS_16TensorDescriptorINS_5TupleIJNS_5EmbedINS4_IJiiEEENS4_IJNS_17integral_constantIiLi1EEEiEEELb0EEENS_7UnMergeINS4_IJiNS7_IiLi4EEEEEELb0EEENS_11PassThroughIiEEEEENS4_IJNS_8SequenceIJLi0EEEENSI_IJLi2EEEENSI_IJLi1EEEEEEENS4_IJNSI_IJLi1ELi2EEEENSI_IJLi3ELi4EEEENSI_IJLi5EEEEEEENSI_IJLi3ELi5ELi4EEEElEENS3_INS4_IJNS5_IS6_NS4_IJiS8_EEELb0EEESE_SG_EEENS4_IJSJ_SL_SK_EEESQ_SR_lEENS3_INS4_IJSU_SG_SG_EEESW_NS4_IJSN_NSI_IJLi3EEEENSI_IJLi4EEEEEEESO_lEELi128ELi128ELi16ELi4ELi4ELi4ELi1ENSI_IJLi8ELi2EEEES13_NSI_IJLi2ELi1ELi4ELi4EEEENSI_IJLi8ELi1ELi32ELi1EEEENSI_IJLi0ELi3ELi1ELi2EEEES16_NSI_IJLi1ELi1ELi4ELi1EEEES16_NSI_IJLi1ELi1ELi4ELi4EEEES14_S15_S16_S16_S17_S16_S18_NSI_IJLi0ELi1ELi2ELi3ELi4ELi5EEEELi5ELi4EEEaaNS3_INS4_IJSA_SE_SG_SG_NSB_INS4_IJiNS7_IiLi128EEEEEELb0EEENSF_ISC_EEEEENS4_IJSJ_SK_SL_SZ_SP_S10_EEENS4_IJSN_SO_SP_NSI_IJLi6EEEENSI_IJLi7ELi8EEEENSI_IJLi9EEEEEEENSI_IJLi6ELi7ELi8ELi9EEEElEENS3_INS4_IJSU_SE_SG_SG_S1D_S1E_EEENS4_IJSJ_SL_SK_SZ_SP_S10_EEES1K_S1L_lEENS3_INS4_IJSU_SG_SG_NSB_INS4_IJiNS7_IiLi2EEENS7_IiLi64EEEEEELb0EEES1T_EEENS4_IJSJ_SL_SK_SZ_S10_EEENS4_IJSN_SZ_S10_NSI_IJLi5ELi6ELi7EEEENSI_IJLi8ELi9ELi10EEEEEEENSI_IJLi5ELi6ELi7ELi8ELi9ELi10EEEElEENS_31BlockToCTileMap_M00_N00_M01_N01ILi128ELi128ES12_Lb0EEELb0ELb1EEEvPKT0_S25_PT1_T2_T3_T4_T5_,"axG",@progbits,_ZN2ck19kernel_gemm_dl_v1r3INS_28GridwiseGemmDl_km_kn_mn_v1r3ILi256EaiaLNS_25InMemoryDataOperationEnumE0ENS_16TensorDescriptorINS_5TupleIJNS_5EmbedINS4_IJiiEEENS4_IJNS_17integral_constantIiLi1EEEiEEELb0EEENS_7UnMergeINS4_IJiNS7_IiLi4EEEEEELb0EEENS_11PassThroughIiEEEEENS4_IJNS_8SequenceIJLi0EEEENSI_IJLi2EEEENSI_IJLi1EEEEEEENS4_IJNSI_IJLi1ELi2EEEENSI_IJLi3ELi4EEEENSI_IJLi5EEEEEEENSI_IJLi3ELi5ELi4EEEElEENS3_INS4_IJNS5_IS6_NS4_IJiS8_EEELb0EEESE_SG_EEENS4_IJSJ_SL_SK_EEESQ_SR_lEENS3_INS4_IJSU_SG_SG_EEESW_NS4_IJSN_NSI_IJLi3EEEENSI_IJLi4EEEEEEESO_lEELi128ELi128ELi16ELi4ELi4ELi4ELi1ENSI_IJLi8ELi2EEEES13_NSI_IJLi2ELi1ELi4ELi4EEEENSI_IJLi8ELi1ELi32ELi1EEEENSI_IJLi0ELi3ELi1ELi2EEEES16_NSI_IJLi1ELi1ELi4ELi1EEEES16_NSI_IJLi1ELi1ELi4ELi4EEEES14_S15_S16_S16_S17_S16_S18_NSI_IJLi0ELi1ELi2ELi3ELi4ELi5EEEELi5ELi4EEEaaNS3_INS4_IJSA_SE_SG_SG_NSB_INS4_IJiNS7_IiLi128EEEEEELb0EEENSF_ISC_EEEEENS4_IJSJ_SK_SL_SZ_SP_S10_EEENS4_IJSN_SO_SP_NSI_IJLi6EEEENSI_IJLi7ELi8EEEENSI_IJLi9EEEEEEENSI_IJLi6ELi7ELi8ELi9EEEElEENS3_INS4_IJSU_SE_SG_SG_S1D_S1E_EEENS4_IJSJ_SL_SK_SZ_SP_S10_EEES1K_S1L_lEENS3_INS4_IJSU_SG_SG_NSB_INS4_IJiNS7_IiLi2EEENS7_IiLi64EEEEEELb0EEES1T_EEENS4_IJSJ_SL_SK_SZ_S10_EEENS4_IJSN_SZ_S10_NSI_IJLi5ELi6ELi7EEEENSI_IJLi8ELi9ELi10EEEEEEENSI_IJLi5ELi6ELi7ELi8ELi9ELi10EEEElEENS_31BlockToCTileMap_M00_N00_M01_N01ILi128ELi128ES12_Lb0EEELb0ELb1EEEvPKT0_S25_PT1_T2_T3_T4_T5_,comdat
	.protected	_ZN2ck19kernel_gemm_dl_v1r3INS_28GridwiseGemmDl_km_kn_mn_v1r3ILi256EaiaLNS_25InMemoryDataOperationEnumE0ENS_16TensorDescriptorINS_5TupleIJNS_5EmbedINS4_IJiiEEENS4_IJNS_17integral_constantIiLi1EEEiEEELb0EEENS_7UnMergeINS4_IJiNS7_IiLi4EEEEEELb0EEENS_11PassThroughIiEEEEENS4_IJNS_8SequenceIJLi0EEEENSI_IJLi2EEEENSI_IJLi1EEEEEEENS4_IJNSI_IJLi1ELi2EEEENSI_IJLi3ELi4EEEENSI_IJLi5EEEEEEENSI_IJLi3ELi5ELi4EEEElEENS3_INS4_IJNS5_IS6_NS4_IJiS8_EEELb0EEESE_SG_EEENS4_IJSJ_SL_SK_EEESQ_SR_lEENS3_INS4_IJSU_SG_SG_EEESW_NS4_IJSN_NSI_IJLi3EEEENSI_IJLi4EEEEEEESO_lEELi128ELi128ELi16ELi4ELi4ELi4ELi1ENSI_IJLi8ELi2EEEES13_NSI_IJLi2ELi1ELi4ELi4EEEENSI_IJLi8ELi1ELi32ELi1EEEENSI_IJLi0ELi3ELi1ELi2EEEES16_NSI_IJLi1ELi1ELi4ELi1EEEES16_NSI_IJLi1ELi1ELi4ELi4EEEES14_S15_S16_S16_S17_S16_S18_NSI_IJLi0ELi1ELi2ELi3ELi4ELi5EEEELi5ELi4EEEaaNS3_INS4_IJSA_SE_SG_SG_NSB_INS4_IJiNS7_IiLi128EEEEEELb0EEENSF_ISC_EEEEENS4_IJSJ_SK_SL_SZ_SP_S10_EEENS4_IJSN_SO_SP_NSI_IJLi6EEEENSI_IJLi7ELi8EEEENSI_IJLi9EEEEEEENSI_IJLi6ELi7ELi8ELi9EEEElEENS3_INS4_IJSU_SE_SG_SG_S1D_S1E_EEENS4_IJSJ_SL_SK_SZ_SP_S10_EEES1K_S1L_lEENS3_INS4_IJSU_SG_SG_NSB_INS4_IJiNS7_IiLi2EEENS7_IiLi64EEEEEELb0EEES1T_EEENS4_IJSJ_SL_SK_SZ_S10_EEENS4_IJSN_SZ_S10_NSI_IJLi5ELi6ELi7EEEENSI_IJLi8ELi9ELi10EEEEEEENSI_IJLi5ELi6ELi7ELi8ELi9ELi10EEEElEENS_31BlockToCTileMap_M00_N00_M01_N01ILi128ELi128ES12_Lb0EEELb0ELb1EEEvPKT0_S25_PT1_T2_T3_T4_T5_ ; -- Begin function _ZN2ck19kernel_gemm_dl_v1r3INS_28GridwiseGemmDl_km_kn_mn_v1r3ILi256EaiaLNS_25InMemoryDataOperationEnumE0ENS_16TensorDescriptorINS_5TupleIJNS_5EmbedINS4_IJiiEEENS4_IJNS_17integral_constantIiLi1EEEiEEELb0EEENS_7UnMergeINS4_IJiNS7_IiLi4EEEEEELb0EEENS_11PassThroughIiEEEEENS4_IJNS_8SequenceIJLi0EEEENSI_IJLi2EEEENSI_IJLi1EEEEEEENS4_IJNSI_IJLi1ELi2EEEENSI_IJLi3ELi4EEEENSI_IJLi5EEEEEEENSI_IJLi3ELi5ELi4EEEElEENS3_INS4_IJNS5_IS6_NS4_IJiS8_EEELb0EEESE_SG_EEENS4_IJSJ_SL_SK_EEESQ_SR_lEENS3_INS4_IJSU_SG_SG_EEESW_NS4_IJSN_NSI_IJLi3EEEENSI_IJLi4EEEEEEESO_lEELi128ELi128ELi16ELi4ELi4ELi4ELi1ENSI_IJLi8ELi2EEEES13_NSI_IJLi2ELi1ELi4ELi4EEEENSI_IJLi8ELi1ELi32ELi1EEEENSI_IJLi0ELi3ELi1ELi2EEEES16_NSI_IJLi1ELi1ELi4ELi1EEEES16_NSI_IJLi1ELi1ELi4ELi4EEEES14_S15_S16_S16_S17_S16_S18_NSI_IJLi0ELi1ELi2ELi3ELi4ELi5EEEELi5ELi4EEEaaNS3_INS4_IJSA_SE_SG_SG_NSB_INS4_IJiNS7_IiLi128EEEEEELb0EEENSF_ISC_EEEEENS4_IJSJ_SK_SL_SZ_SP_S10_EEENS4_IJSN_SO_SP_NSI_IJLi6EEEENSI_IJLi7ELi8EEEENSI_IJLi9EEEEEEENSI_IJLi6ELi7ELi8ELi9EEEElEENS3_INS4_IJSU_SE_SG_SG_S1D_S1E_EEENS4_IJSJ_SL_SK_SZ_SP_S10_EEES1K_S1L_lEENS3_INS4_IJSU_SG_SG_NSB_INS4_IJiNS7_IiLi2EEENS7_IiLi64EEEEEELb0EEES1T_EEENS4_IJSJ_SL_SK_SZ_S10_EEENS4_IJSN_SZ_S10_NSI_IJLi5ELi6ELi7EEEENSI_IJLi8ELi9ELi10EEEEEEENSI_IJLi5ELi6ELi7ELi8ELi9ELi10EEEElEENS_31BlockToCTileMap_M00_N00_M01_N01ILi128ELi128ES12_Lb0EEELb0ELb1EEEvPKT0_S25_PT1_T2_T3_T4_T5_
	.globl	_ZN2ck19kernel_gemm_dl_v1r3INS_28GridwiseGemmDl_km_kn_mn_v1r3ILi256EaiaLNS_25InMemoryDataOperationEnumE0ENS_16TensorDescriptorINS_5TupleIJNS_5EmbedINS4_IJiiEEENS4_IJNS_17integral_constantIiLi1EEEiEEELb0EEENS_7UnMergeINS4_IJiNS7_IiLi4EEEEEELb0EEENS_11PassThroughIiEEEEENS4_IJNS_8SequenceIJLi0EEEENSI_IJLi2EEEENSI_IJLi1EEEEEEENS4_IJNSI_IJLi1ELi2EEEENSI_IJLi3ELi4EEEENSI_IJLi5EEEEEEENSI_IJLi3ELi5ELi4EEEElEENS3_INS4_IJNS5_IS6_NS4_IJiS8_EEELb0EEESE_SG_EEENS4_IJSJ_SL_SK_EEESQ_SR_lEENS3_INS4_IJSU_SG_SG_EEESW_NS4_IJSN_NSI_IJLi3EEEENSI_IJLi4EEEEEEESO_lEELi128ELi128ELi16ELi4ELi4ELi4ELi1ENSI_IJLi8ELi2EEEES13_NSI_IJLi2ELi1ELi4ELi4EEEENSI_IJLi8ELi1ELi32ELi1EEEENSI_IJLi0ELi3ELi1ELi2EEEES16_NSI_IJLi1ELi1ELi4ELi1EEEES16_NSI_IJLi1ELi1ELi4ELi4EEEES14_S15_S16_S16_S17_S16_S18_NSI_IJLi0ELi1ELi2ELi3ELi4ELi5EEEELi5ELi4EEEaaNS3_INS4_IJSA_SE_SG_SG_NSB_INS4_IJiNS7_IiLi128EEEEEELb0EEENSF_ISC_EEEEENS4_IJSJ_SK_SL_SZ_SP_S10_EEENS4_IJSN_SO_SP_NSI_IJLi6EEEENSI_IJLi7ELi8EEEENSI_IJLi9EEEEEEENSI_IJLi6ELi7ELi8ELi9EEEElEENS3_INS4_IJSU_SE_SG_SG_S1D_S1E_EEENS4_IJSJ_SL_SK_SZ_SP_S10_EEES1K_S1L_lEENS3_INS4_IJSU_SG_SG_NSB_INS4_IJiNS7_IiLi2EEENS7_IiLi64EEEEEELb0EEES1T_EEENS4_IJSJ_SL_SK_SZ_S10_EEENS4_IJSN_SZ_S10_NSI_IJLi5ELi6ELi7EEEENSI_IJLi8ELi9ELi10EEEEEEENSI_IJLi5ELi6ELi7ELi8ELi9ELi10EEEElEENS_31BlockToCTileMap_M00_N00_M01_N01ILi128ELi128ES12_Lb0EEELb0ELb1EEEvPKT0_S25_PT1_T2_T3_T4_T5_
	.p2align	8
	.type	_ZN2ck19kernel_gemm_dl_v1r3INS_28GridwiseGemmDl_km_kn_mn_v1r3ILi256EaiaLNS_25InMemoryDataOperationEnumE0ENS_16TensorDescriptorINS_5TupleIJNS_5EmbedINS4_IJiiEEENS4_IJNS_17integral_constantIiLi1EEEiEEELb0EEENS_7UnMergeINS4_IJiNS7_IiLi4EEEEEELb0EEENS_11PassThroughIiEEEEENS4_IJNS_8SequenceIJLi0EEEENSI_IJLi2EEEENSI_IJLi1EEEEEEENS4_IJNSI_IJLi1ELi2EEEENSI_IJLi3ELi4EEEENSI_IJLi5EEEEEEENSI_IJLi3ELi5ELi4EEEElEENS3_INS4_IJNS5_IS6_NS4_IJiS8_EEELb0EEESE_SG_EEENS4_IJSJ_SL_SK_EEESQ_SR_lEENS3_INS4_IJSU_SG_SG_EEESW_NS4_IJSN_NSI_IJLi3EEEENSI_IJLi4EEEEEEESO_lEELi128ELi128ELi16ELi4ELi4ELi4ELi1ENSI_IJLi8ELi2EEEES13_NSI_IJLi2ELi1ELi4ELi4EEEENSI_IJLi8ELi1ELi32ELi1EEEENSI_IJLi0ELi3ELi1ELi2EEEES16_NSI_IJLi1ELi1ELi4ELi1EEEES16_NSI_IJLi1ELi1ELi4ELi4EEEES14_S15_S16_S16_S17_S16_S18_NSI_IJLi0ELi1ELi2ELi3ELi4ELi5EEEELi5ELi4EEEaaNS3_INS4_IJSA_SE_SG_SG_NSB_INS4_IJiNS7_IiLi128EEEEEELb0EEENSF_ISC_EEEEENS4_IJSJ_SK_SL_SZ_SP_S10_EEENS4_IJSN_SO_SP_NSI_IJLi6EEEENSI_IJLi7ELi8EEEENSI_IJLi9EEEEEEENSI_IJLi6ELi7ELi8ELi9EEEElEENS3_INS4_IJSU_SE_SG_SG_S1D_S1E_EEENS4_IJSJ_SL_SK_SZ_SP_S10_EEES1K_S1L_lEENS3_INS4_IJSU_SG_SG_NSB_INS4_IJiNS7_IiLi2EEENS7_IiLi64EEEEEELb0EEES1T_EEENS4_IJSJ_SL_SK_SZ_S10_EEENS4_IJSN_SZ_S10_NSI_IJLi5ELi6ELi7EEEENSI_IJLi8ELi9ELi10EEEEEEENSI_IJLi5ELi6ELi7ELi8ELi9ELi10EEEElEENS_31BlockToCTileMap_M00_N00_M01_N01ILi128ELi128ES12_Lb0EEELb0ELb1EEEvPKT0_S25_PT1_T2_T3_T4_T5_,@function
_ZN2ck19kernel_gemm_dl_v1r3INS_28GridwiseGemmDl_km_kn_mn_v1r3ILi256EaiaLNS_25InMemoryDataOperationEnumE0ENS_16TensorDescriptorINS_5TupleIJNS_5EmbedINS4_IJiiEEENS4_IJNS_17integral_constantIiLi1EEEiEEELb0EEENS_7UnMergeINS4_IJiNS7_IiLi4EEEEEELb0EEENS_11PassThroughIiEEEEENS4_IJNS_8SequenceIJLi0EEEENSI_IJLi2EEEENSI_IJLi1EEEEEEENS4_IJNSI_IJLi1ELi2EEEENSI_IJLi3ELi4EEEENSI_IJLi5EEEEEEENSI_IJLi3ELi5ELi4EEEElEENS3_INS4_IJNS5_IS6_NS4_IJiS8_EEELb0EEESE_SG_EEENS4_IJSJ_SL_SK_EEESQ_SR_lEENS3_INS4_IJSU_SG_SG_EEESW_NS4_IJSN_NSI_IJLi3EEEENSI_IJLi4EEEEEEESO_lEELi128ELi128ELi16ELi4ELi4ELi4ELi1ENSI_IJLi8ELi2EEEES13_NSI_IJLi2ELi1ELi4ELi4EEEENSI_IJLi8ELi1ELi32ELi1EEEENSI_IJLi0ELi3ELi1ELi2EEEES16_NSI_IJLi1ELi1ELi4ELi1EEEES16_NSI_IJLi1ELi1ELi4ELi4EEEES14_S15_S16_S16_S17_S16_S18_NSI_IJLi0ELi1ELi2ELi3ELi4ELi5EEEELi5ELi4EEEaaNS3_INS4_IJSA_SE_SG_SG_NSB_INS4_IJiNS7_IiLi128EEEEEELb0EEENSF_ISC_EEEEENS4_IJSJ_SK_SL_SZ_SP_S10_EEENS4_IJSN_SO_SP_NSI_IJLi6EEEENSI_IJLi7ELi8EEEENSI_IJLi9EEEEEEENSI_IJLi6ELi7ELi8ELi9EEEElEENS3_INS4_IJSU_SE_SG_SG_S1D_S1E_EEENS4_IJSJ_SL_SK_SZ_SP_S10_EEES1K_S1L_lEENS3_INS4_IJSU_SG_SG_NSB_INS4_IJiNS7_IiLi2EEENS7_IiLi64EEEEEELb0EEES1T_EEENS4_IJSJ_SL_SK_SZ_S10_EEENS4_IJSN_SZ_S10_NSI_IJLi5ELi6ELi7EEEENSI_IJLi8ELi9ELi10EEEEEEENSI_IJLi5ELi6ELi7ELi8ELi9ELi10EEEElEENS_31BlockToCTileMap_M00_N00_M01_N01ILi128ELi128ES12_Lb0EEELb0ELb1EEEvPKT0_S25_PT1_T2_T3_T4_T5_: ; @_ZN2ck19kernel_gemm_dl_v1r3INS_28GridwiseGemmDl_km_kn_mn_v1r3ILi256EaiaLNS_25InMemoryDataOperationEnumE0ENS_16TensorDescriptorINS_5TupleIJNS_5EmbedINS4_IJiiEEENS4_IJNS_17integral_constantIiLi1EEEiEEELb0EEENS_7UnMergeINS4_IJiNS7_IiLi4EEEEEELb0EEENS_11PassThroughIiEEEEENS4_IJNS_8SequenceIJLi0EEEENSI_IJLi2EEEENSI_IJLi1EEEEEEENS4_IJNSI_IJLi1ELi2EEEENSI_IJLi3ELi4EEEENSI_IJLi5EEEEEEENSI_IJLi3ELi5ELi4EEEElEENS3_INS4_IJNS5_IS6_NS4_IJiS8_EEELb0EEESE_SG_EEENS4_IJSJ_SL_SK_EEESQ_SR_lEENS3_INS4_IJSU_SG_SG_EEESW_NS4_IJSN_NSI_IJLi3EEEENSI_IJLi4EEEEEEESO_lEELi128ELi128ELi16ELi4ELi4ELi4ELi1ENSI_IJLi8ELi2EEEES13_NSI_IJLi2ELi1ELi4ELi4EEEENSI_IJLi8ELi1ELi32ELi1EEEENSI_IJLi0ELi3ELi1ELi2EEEES16_NSI_IJLi1ELi1ELi4ELi1EEEES16_NSI_IJLi1ELi1ELi4ELi4EEEES14_S15_S16_S16_S17_S16_S18_NSI_IJLi0ELi1ELi2ELi3ELi4ELi5EEEELi5ELi4EEEaaNS3_INS4_IJSA_SE_SG_SG_NSB_INS4_IJiNS7_IiLi128EEEEEELb0EEENSF_ISC_EEEEENS4_IJSJ_SK_SL_SZ_SP_S10_EEENS4_IJSN_SO_SP_NSI_IJLi6EEEENSI_IJLi7ELi8EEEENSI_IJLi9EEEEEEENSI_IJLi6ELi7ELi8ELi9EEEElEENS3_INS4_IJSU_SE_SG_SG_S1D_S1E_EEENS4_IJSJ_SL_SK_SZ_SP_S10_EEES1K_S1L_lEENS3_INS4_IJSU_SG_SG_NSB_INS4_IJiNS7_IiLi2EEENS7_IiLi64EEEEEELb0EEES1T_EEENS4_IJSJ_SL_SK_SZ_S10_EEENS4_IJSN_SZ_S10_NSI_IJLi5ELi6ELi7EEEENSI_IJLi8ELi9ELi10EEEEEEENSI_IJLi5ELi6ELi7ELi8ELi9ELi10EEEElEENS_31BlockToCTileMap_M00_N00_M01_N01ILi128ELi128ES12_Lb0EEELb0ELb1EEEvPKT0_S25_PT1_T2_T3_T4_T5_
; %bb.0:
	s_clause 0xc
	s_load_b128 s[24:27], s[0:1], 0x11c
	s_load_b128 s[20:23], s[0:1], 0x108
	;; [unrolled: 1-line block ×4, first 2 shown]
	s_load_b64 s[4:5], s[0:1], 0x10
	s_load_b32 s28, s[0:1], 0x24
	s_load_b32 s2, s[0:1], 0x50
	;; [unrolled: 1-line block ×8, first 2 shown]
	v_lshrrev_b32_e32 v1, 4, v0
	v_mov_b32_e32 v34, 0
	v_lshrrev_b32_e32 v3, 5, v0
	s_movk_i32 s32, 0x1e0
	s_delay_alu instid0(VALU_DEP_3) | instskip(SKIP_4) | instid1(VALU_DEP_4)
	v_and_b32_e32 v19, 14, v1
	v_lshlrev_b32_e32 v2, 2, v0
	v_lshlrev_b32_e32 v0, 1, v0
	v_dual_mov_b32 v9, v34 :: v_dual_lshlrev_b32 v4, 6, v3
	v_mov_b32_e32 v36, v34
	v_and_b32_e32 v20, 0x7c, v2
	s_delay_alu instid0(VALU_DEP_4)
	v_and_b32_e32 v1, 0x1f8, v0
	v_dual_mov_b32 v7, v34 :: v_dual_and_b32 v0, 0x1fc, v0
	v_mov_b32_e32 v13, v34
	s_waitcnt lgkmcnt(0)
	s_mul_hi_u32 s1, s27, s15
	v_sub_nc_u32_e32 v4, v1, v4
	s_add_i32 s1, s15, s1
	v_sub_nc_u32_e32 v6, v0, v1
	s_lshr_b32 s1, s1, s39
	v_mov_b32_e32 v11, v34
	s_mul_hi_u32 s7, s1, s26
	s_mul_i32 s9, s1, s23
	s_add_i32 s7, s1, s7
	s_sub_i32 s9, s15, s9
	s_lshr_b32 s7, s7, s38
	v_lshl_add_u32 v35, v3, 3, v6
	s_mul_hi_u32 s8, s7, s25
	s_mul_i32 s11, s7, s22
	s_add_i32 s8, s7, s8
	s_sub_i32 s1, s1, s11
	s_lshr_b32 s8, s8, s37
	v_lshlrev_b32_e32 v5, 2, v19
	s_mul_hi_u32 s13, s8, s24
	v_mov_b32_e32 v3, v34
	s_add_i32 s11, s8, s13
	s_mul_i32 s13, s8, s21
	s_lshr_b32 s11, s11, s36
	s_sub_i32 s7, s7, s13
	s_mul_i32 s11, s11, s20
	s_mul_i32 s7, s7, s0
	s_sub_i32 s0, s8, s11
	s_add_i32 s9, s9, s7
	s_mul_i32 s0, s0, s3
	s_lshl_b32 s7, s9, 7
	s_add_i32 s1, s1, s0
	v_or_b32_e32 v0, s7, v20
	s_lshl_b32 s13, s1, 7
	s_mov_b32 s20, 0
	v_or_b32_e32 v1, s13, v20
	v_mov_b32_e32 v6, v35
	s_mov_b32 s21, s20
	s_mov_b32 s22, s20
	;; [unrolled: 1-line block ×3, first 2 shown]
	v_mad_u64_u32 v[16:17], null, s14, v5, v[0:1]
	v_mad_u64_u32 v[17:18], null, s28, v5, v[1:2]
	v_mov_b32_e32 v1, v34
	v_and_or_b32 v37, v2, 4, v4
	v_lshlrev_b32_e32 v0, 2, v35
	v_mov_b32_e32 v2, v35
	v_dual_mov_b32 v4, v34 :: v_dual_mov_b32 v41, s23
	s_delay_alu instid0(VALU_DEP_4)
	v_dual_mov_b32 v5, v34 :: v_dual_lshlrev_b32 v8, 2, v37
	v_dual_mov_b32 v15, v34 :: v_dual_mov_b32 v10, v37
	v_dual_mov_b32 v39, s21 :: v_dual_mov_b32 v14, v37
	s_mov_b64 s[0:1], src_shared_base
	v_mov_b32_e32 v12, v34
	v_mov_b32_e32 v38, s20
	s_lshl_b32 s15, s14, 2
	v_mov_b32_e32 v40, s22
	s_clause 0x8
	scratch_store_b128 off, v[34:37], off offset:64
	scratch_store_b128 off, v[0:3], off offset:80
	;; [unrolled: 1-line block ×9, first 2 shown]
	v_dual_mov_b32 v1, s1 :: v_dual_add_nc_u32 v6, s28, v17
	s_mov_b32 s0, s16
	s_lshl_b32 s16, s28, 2
	s_mov_b32 s1, s17
	s_delay_alu instid0(VALU_DEP_1)
	v_add_nc_u32_e32 v10, s28, v6
	v_add_nc_u32_e32 v15, s16, v17
	s_mul_i32 s17, s28, 60
	s_mov_b32 s3, 0x31004000
	s_mov_b32 s8, s18
	v_dual_mov_b32 v0, v34 :: v_dual_add_nc_u32 v13, s28, v10
	s_clause 0x6
	scratch_store_b128 off, v[38:41], off offset:208
	scratch_store_b128 off, v[38:41], off offset:224
	;; [unrolled: 1-line block ×6, first 2 shown]
	scratch_store_b64 off, v[0:1], off offset:400
	v_mov_b32_e32 v0, 0x4000
	s_clause 0x4
	scratch_store_b128 off, v[38:41], off offset:304
	scratch_store_b128 off, v[38:41], off offset:320
	;; [unrolled: 1-line block ×4, first 2 shown]
	scratch_store_b64 off, v[0:1], off offset:416
	v_mov_b32_e32 v0, 0x2000
	s_clause 0x5
	scratch_store_b128 off, v[38:41], off offset:368
	scratch_store_b128 off, v[38:41], off offset:384
	scratch_store_b8 off, v34, off offset:409
	scratch_store_b8 off, v34, off offset:425
	scratch_store_b64 off, v[0:1], off offset:432
	scratch_store_b8 off, v34, off offset:441
	v_mov_b32_e32 v0, 0x6000
	s_clause 0x1
	scratch_store_b64 off, v[0:1], off offset:448
	scratch_store_b8 off, v34, off offset:457
	v_add_nc_u32_e32 v1, s14, v16
	s_mov_b32 s9, s19
	s_mov_b32 s11, s3
	s_clause 0x1
	buffer_load_b32 v3, v17, s[0:3], 0 offen
	buffer_load_b32 v11, v10, s[0:3], 0 offen
	s_clause 0x1
	buffer_load_b32 v0, v16, s[8:11], 0 offen
	buffer_load_b32 v2, v1, s[8:11], 0 offen
	v_add_nc_u32_e32 v4, s14, v1
	buffer_load_b32 v7, v6, s[0:3], 0 offen
	v_add_nc_u32_e32 v22, s15, v1
	v_add_nc_u32_e32 v10, s16, v10
	v_add_nc_u32_e32 v6, s16, v6
	buffer_load_b32 v5, v4, s[8:11], 0 offen
	v_add_nc_u32_e32 v8, s14, v4
	v_add_nc_u32_e32 v21, s15, v4
	v_lshlrev_b32_e32 v20, 2, v20
	v_add_nc_u32_e32 v26, s17, v6
	v_add_nc_u32_e32 v27, s17, v10
	buffer_load_b32 v9, v8, s[8:11], 0 offen
	v_add_nc_u32_e32 v18, s15, v8
	v_add_nc_u32_e32 v16, s15, v16
	s_clause 0x3
	buffer_load_b32 v1, v18, s[8:11], 0 offen
	buffer_load_b32 v4, v21, s[8:11], 0 offen
	;; [unrolled: 1-line block ×5, first 2 shown]
	v_add_nc_u32_e32 v13, s16, v13
	s_clause 0x3
	buffer_load_b32 v17, v13, s[0:3], 0 offen
	buffer_load_b32 v23, v10, s[0:3], 0 offen
	;; [unrolled: 1-line block ×4, first 2 shown]
	v_lshl_or_b32 v34, v19, 9, v20
	v_add_nc_u32_e32 v19, s17, v13
	v_add_nc_u32_e32 v20, s17, v15
	s_delay_alu instid0(VALU_DEP_2)
	v_add_nc_u32_e32 v28, s16, v19
	s_mul_i32 s16, s14, 60
	s_waitcnt vmcnt(15)
	v_lshrrev_b32_e32 v31, 16, v3
	v_lshrrev_b16 v30, 8, v3
	s_waitcnt vmcnt(13)
	v_lshrrev_b32_e32 v6, 16, v0
	v_lshrrev_b16 v10, 8, v0
	v_lshrrev_b32_e32 v13, 24, v0
	v_and_b32_e32 v0, 0xff, v0
	s_waitcnt vmcnt(12)
	v_lshrrev_b32_e32 v15, 16, v2
	v_and_b32_e32 v29, 0xffffff00, v2
	v_lshlrev_b16 v2, 8, v2
	v_and_b32_e32 v6, 0xff, v6
	s_waitcnt vmcnt(10)
	v_lshrrev_b32_e32 v36, 16, v5
	v_and_b32_e32 v33, 0xffffff00, v15
	v_lshlrev_b16 v15, 8, v15
	v_or_b32_e32 v10, v10, v29
	v_lshrrev_b16 v29, 8, v5
	v_lshrrev_b32_e32 v42, 24, v5
	v_or_b32_e32 v0, v0, v2
	v_and_b32_e32 v2, 0xff, v5
	v_and_b32_e32 v5, 0xff, v31
	v_lshrrev_b32_e32 v31, 16, v7
	v_lshrrev_b32_e32 v32, 24, v3
	v_and_b32_e32 v3, 0xff, v3
	v_and_b32_e32 v43, 0xffffff00, v7
	v_lshlrev_b16 v7, 8, v7
	v_or_b32_e32 v13, v13, v33
	v_or_b32_e32 v6, v6, v15
	v_and_b32_e32 v15, 0xff, v36
	s_waitcnt vmcnt(9)
	v_lshrrev_b32_e32 v33, 16, v9
	v_and_b32_e32 v36, 0xffffff00, v9
	v_lshlrev_b16 v9, 8, v9
	v_and_b32_e32 v44, 0xffffff00, v31
	v_lshlrev_b16 v31, 8, v31
	v_lshrrev_b32_e32 v45, 16, v11
	v_or_b32_e32 v3, v3, v7
	v_or_b32_e32 v30, v30, v43
	v_lshrrev_b16 v43, 8, v11
	v_lshrrev_b32_e32 v46, 24, v11
	v_and_b32_e32 v7, 0xff, v11
	v_and_b32_e32 v11, 0xffffff00, v33
	v_lshlrev_b16 v33, 8, v33
	v_or_b32_e32 v29, v29, v36
	s_waitcnt vmcnt(8)
	v_lshrrev_b32_e32 v36, 16, v1
	s_waitcnt vmcnt(7)
	v_lshrrev_b32_e32 v48, 16, v4
	v_and_b32_e32 v49, 0xffffff00, v1
	v_lshrrev_b16 v50, 8, v4
	s_waitcnt vmcnt(6)
	v_lshrrev_b32_e32 v51, 16, v8
	s_waitcnt vmcnt(5)
	v_lshrrev_b32_e32 v52, 24, v12
	v_lshrrev_b32_e32 v53, 16, v12
	v_and_b32_e32 v54, 0xffffff00, v8
	v_lshrrev_b16 v55, 8, v12
	v_or_b32_e32 v2, v2, v9
	v_and_b32_e32 v9, 0xffff, v13
	v_and_b32_e32 v12, 0xff, v12
	v_lshlrev_b16 v8, 8, v8
	v_or_b32_e32 v13, v32, v44
	s_waitcnt vmcnt(4)
	v_lshrrev_b32_e32 v32, 16, v14
	v_and_b32_e32 v44, 0xffffff00, v14
	v_or_b32_e32 v5, v5, v31
	v_and_b32_e32 v31, 0xff, v45
	v_and_b32_e32 v45, 0xffff, v3
	v_lshlrev_b16 v3, 8, v14
	v_and_b32_e32 v0, 0xffff, v0
	v_and_b32_e32 v10, 0xffff, v10
	v_lshrrev_b32_e32 v47, 24, v4
	v_and_b32_e32 v4, 0xff, v4
	v_lshlrev_b16 v1, 8, v1
	v_and_b32_e32 v14, 0xffff, v30
	v_or_b32_e32 v11, v42, v11
	v_or_b32_e32 v15, v15, v33
	v_and_b32_e32 v30, 0xffffff00, v36
	v_lshlrev_b16 v33, 8, v36
	v_and_b32_e32 v36, 0xff, v48
	v_or_b32_e32 v42, v50, v49
	v_and_b32_e32 v48, 0xffffff00, v51
	v_lshlrev_b16 v49, 8, v51
	v_and_b32_e32 v50, 0xff, v53
	v_or_b32_e32 v51, v55, v54
	v_lshlrev_b32_e32 v2, 16, v2
	v_lshlrev_b32_e32 v29, 16, v29
	v_or_b32_e32 v8, v12, v8
	v_and_b32_e32 v12, 0xffffff00, v32
	v_lshlrev_b16 v32, 8, v32
	v_or_b32_e32 v43, v43, v44
	s_waitcnt vmcnt(3)
	v_lshrrev_b32_e32 v44, 16, v17
	s_waitcnt vmcnt(2)
	v_lshrrev_b32_e32 v54, 16, v23
	;; [unrolled: 2-line block ×4, first 2 shown]
	v_lshrrev_b32_e32 v53, 24, v23
	v_and_b32_e32 v55, 0xffffff00, v17
	v_lshrrev_b16 v56, 8, v23
	v_or_b32_e32 v3, v7, v3
	v_and_b32_e32 v62, 0xffff, v5
	v_and_b32_e32 v5, 0xff, v25
	v_lshlrev_b16 v7, 8, v24
	v_and_b32_e32 v23, 0xff, v23
	v_lshlrev_b16 v17, 8, v17
	v_and_b32_e32 v6, 0xffff, v6
	v_or_b32_e32 v4, v4, v1
	v_lshrrev_b32_e32 v58, 24, v25
	v_and_b32_e32 v60, 0xffffff00, v24
	v_lshrrev_b16 v61, 8, v25
	v_or_b32_e32 v24, v47, v30
	v_or_b32_e32 v25, v36, v33
	;; [unrolled: 1-line block ×6, first 2 shown]
	v_lshlrev_b32_e32 v2, 16, v15
	v_lshlrev_b32_e32 v10, 16, v11
	v_and_b32_e32 v11, 0xffff, v51
	v_lshlrev_b32_e32 v15, 16, v42
	v_or_b32_e32 v12, v46, v12
	v_or_b32_e32 v29, v31, v32
	v_and_b32_e32 v31, 0xffffff00, v44
	v_lshlrev_b16 v32, 8, v44
	v_and_b32_e32 v36, 0xff, v54
	v_and_b32_e32 v44, 0xffffff00, v57
	v_lshlrev_b16 v46, 8, v57
	v_and_b32_e32 v47, 0xff, v59
	v_lshlrev_b32_e32 v43, 16, v43
	v_or_b32_e32 v7, v5, v7
	v_or_b32_e32 v17, v23, v17
	;; [unrolled: 1-line block ×4, first 2 shown]
	v_lshlrev_b32_e32 v49, 16, v3
	v_or_b32_e32 v2, v6, v2
	v_or_b32_e32 v3, v9, v10
	v_or_b32_e32 v5, v11, v15
	v_and_b32_e32 v6, 0xffff, v33
	v_lshlrev_b32_e32 v10, 16, v25
	v_and_b32_e32 v11, 0xffff, v30
	v_lshlrev_b32_e32 v15, 16, v24
	v_or_b32_e32 v23, v53, v31
	v_or_b32_e32 v24, v36, v32
	v_or_b32_e32 v25, v58, v44
	v_or_b32_e32 v30, v47, v46
	v_or_b32_e32 v9, v14, v43
	v_lshlrev_b32_e32 v14, 16, v29
	v_and_b32_e32 v8, 0xffff, v8
	v_lshlrev_b32_e32 v4, 16, v4
	v_and_b32_e32 v13, 0xffff, v13
	;; [unrolled: 2-line block ×4, first 2 shown]
	v_lshlrev_b32_e32 v32, 16, v42
	v_or_b32_e32 v6, v6, v10
	v_or_b32_e32 v7, v11, v15
	;; [unrolled: 1-line block ×3, first 2 shown]
	v_and_b32_e32 v14, 0xffff, v30
	v_lshlrev_b32_e32 v15, 16, v24
	v_and_b32_e32 v24, 0xffff, v25
	v_lshlrev_b32_e32 v23, 16, v23
	v_or_b32_e32 v4, v8, v4
	v_or_b32_e32 v8, v45, v49
	;; [unrolled: 1-line block ×4, first 2 shown]
	v_subrev_nc_u32_e32 v17, s28, v28
	v_or_b32_e32 v13, v31, v32
	v_or_b32_e32 v14, v14, v15
	;; [unrolled: 1-line block ×3, first 2 shown]
	ds_store_b128 v34, v[0:3] offset:16384
	ds_store_b128 v34, v[4:7] offset:16896
	ds_store_b128 v34, v[8:11]
	ds_store_b128 v34, v[12:15] offset:512
	v_add_nc_u32_e32 v1, s16, v18
	v_subrev_nc_u32_e32 v0, s28, v17
	v_add_nc_u32_e32 v3, s16, v16
	s_waitcnt lgkmcnt(0)
	s_waitcnt_vscnt null, 0x0
	s_barrier
	v_add_nc_u32_e32 v4, s15, v1
	v_subrev_nc_u32_e32 v2, s28, v0
	s_clause 0x2
	buffer_load_b32 v63, v20, s[0:3], 0 offen
	buffer_load_b32 v64, v26, s[0:3], 0 offen
	;; [unrolled: 1-line block ×3, first 2 shown]
	v_subrev_nc_u32_e32 v5, s14, v4
	s_clause 0x4
	buffer_load_b32 v66, v19, s[0:3], 0 offen
	buffer_load_b32 v67, v28, s[0:3], 0 offen
	;; [unrolled: 1-line block ×5, first 2 shown]
	v_add_nc_u32_e32 v0, s16, v22
	v_add_nc_u32_e32 v2, s16, v21
	s_clause 0x1
	buffer_load_b32 v43, v3, s[8:11], 0 offen
	buffer_load_b32 v44, v0, s[8:11], 0 offen
	v_subrev_nc_u32_e32 v0, s14, v5
	s_clause 0x1
	buffer_load_b32 v71, v2, s[8:11], 0 offen
	buffer_load_b32 v72, v1, s[8:11], 0 offen
	s_mov_b64 s[0:1], src_private_base
	v_subrev_nc_u32_e32 v1, s14, v0
	s_clause 0x3
	buffer_load_b32 v36, v4, s[8:11], 0 offen
	buffer_load_b32 v42, v5, s[8:11], 0 offen
	;; [unrolled: 1-line block ×4, first 2 shown]
	s_clause 0x9
	scratch_load_b32 v32, off, off offset:112
	scratch_load_b32 v33, off, off offset:80
	scratch_load_b128 v[0:3], off, off offset:144
	scratch_load_b128 v[4:7], off, off offset:176
	;; [unrolled: 1-line block ×8, first 2 shown]
	s_getpc_b64 s[8:9]
	s_add_u32 s8, s8, _ZNK2ck6detail15static_for_implINS_8SequenceIJLi1ELi2ELi3ELi4ELi5ELi6ELi7ELi8ELi9ELi10ELi11ELi12ELi13ELi14ELi15EEEEEclIZNKS_80BlockwiseGemmDl_A_BK0_BM_BK1_B_BK0_BN_BK1_C_BM0_BM1_BN0_BN1_pipeline_BM0_2_BN0_2ILi256EaaiKNS_16TensorDescriptorINS_5TupleIJNS_5EmbedINS8_IJNS_17integral_constantIiLi16EEENSA_IiLi128EEENSA_IiLi4EEEEEENS8_IJNSA_IiLi512EEESD_NSA_IiLi1EEEEEELb0EEEEEENS8_IJNS2_IJLi0EEEEEEENS8_IJNS2_IJLi1ELi2ELi3EEEEEEESM_NSA_IlLl8192EEEEESQ_Li4ELi4ELi1ENS2_IJLi8ELi2EEEESR_Li4ELi4ELb0EE3RunINS7_INS8_IJNS_7UnMergeINS8_IJNSA_IiLi2EEESD_SV_SD_EEELb0EEEEEESL_NS8_IJNS2_IJLi1ELi2ELi3ELi4EEEEEEESZ_NSA_IlLl64EEEEENS_13DynamicBufferILNS_16AddressSpaceEnumE2EaSO_Lb1ELNS_22AmdBufferCoherenceEnumE0EiEES16_NS_12StaticBufferILS14_4EiLi64ELb1EEEEEvRKT_RKT0_RKT1_RT2_EUlS19_E_EEvS19_@rel32@lo+4
	s_addc_u32 s9, s9, _ZNK2ck6detail15static_for_implINS_8SequenceIJLi1ELi2ELi3ELi4ELi5ELi6ELi7ELi8ELi9ELi10ELi11ELi12ELi13ELi14ELi15EEEEEclIZNKS_80BlockwiseGemmDl_A_BK0_BM_BK1_B_BK0_BN_BK1_C_BM0_BM1_BN0_BN1_pipeline_BM0_2_BN0_2ILi256EaaiKNS_16TensorDescriptorINS_5TupleIJNS_5EmbedINS8_IJNS_17integral_constantIiLi16EEENSA_IiLi128EEENSA_IiLi4EEEEEENS8_IJNSA_IiLi512EEESD_NSA_IiLi1EEEEEELb0EEEEEENS8_IJNS2_IJLi0EEEEEEENS8_IJNS2_IJLi1ELi2ELi3EEEEEEESM_NSA_IlLl8192EEEEESQ_Li4ELi4ELi1ENS2_IJLi8ELi2EEEESR_Li4ELi4ELb0EE3RunINS7_INS8_IJNS_7UnMergeINS8_IJNSA_IiLi2EEESD_SV_SD_EEELb0EEEEEESL_NS8_IJNS2_IJLi1ELi2ELi3ELi4EEEEEEESZ_NSA_IlLl64EEEEENS_13DynamicBufferILNS_16AddressSpaceEnumE2EaSO_Lb1ELNS_22AmdBufferCoherenceEnumE0EiEES16_NS_12StaticBufferILS14_4EiLi64ELb1EEEEEvRKT_RKT0_RKT1_RT2_EUlS19_E_EEvS19_@rel32@hi+12
	s_waitcnt vmcnt(9)
	ds_load_b128 v[47:50], v32 offset:16384
	ds_load_b128 v[51:54], v32 offset:16640
	s_waitcnt vmcnt(8)
	ds_load_b128 v[55:58], v33
	ds_load_b128 v[59:62], v33 offset:256
	v_lshrrev_b16 v73, 8, v63
	v_lshrrev_b32_e32 v74, 16, v63
	v_lshrrev_b32_e32 v76, 16, v64
	v_and_b32_e32 v77, 0xffffff00, v64
	v_lshrrev_b16 v78, 8, v65
	v_lshrrev_b32_e32 v79, 16, v65
	v_lshrrev_b32_e32 v81, 16, v66
	v_and_b32_e32 v82, 0xffffff00, v66
	v_lshrrev_b32_e32 v83, 16, v67
	v_lshrrev_b32_e32 v85, 16, v68
	v_and_b32_e32 v86, 0xffffff00, v67
	v_lshrrev_b16 v87, 8, v68
	v_lshrrev_b32_e32 v88, 16, v69
	v_lshrrev_b32_e32 v90, 16, v70
	v_and_b32_e32 v91, 0xffffff00, v69
	v_lshrrev_b16 v92, 8, v70
	v_lshrrev_b16 v93, 8, v43
	v_lshrrev_b32_e32 v94, 16, v43
	v_lshrrev_b32_e32 v96, 16, v44
	v_and_b32_e32 v97, 0xffffff00, v44
	v_lshrrev_b16 v98, 8, v71
	v_lshrrev_b32_e32 v99, 16, v71
	v_lshrrev_b32_e32 v101, 16, v72
	v_and_b32_e32 v102, 0xffffff00, v72
	v_lshrrev_b32_e32 v103, 16, v36
	v_lshrrev_b32_e32 v105, 16, v42
	v_and_b32_e32 v106, 0xffffff00, v36
	v_lshrrev_b16 v107, 8, v42
	v_lshrrev_b32_e32 v108, 16, v45
	v_lshrrev_b32_e32 v110, 16, v46
	s_waitcnt vmcnt(7) lgkmcnt(1)
	v_dot4_i32_iu8 v0, v55, v47, v0 neg_lo:[1,1,0]
	v_dot4_i32_iu8 v1, v55, v48, v1 neg_lo:[1,1,0]
	;; [unrolled: 1-line block ×4, first 2 shown]
	s_waitcnt vmcnt(3)
	v_dot4_i32_iu8 v16, v55, v51, v16 neg_lo:[1,1,0]
	v_dot4_i32_iu8 v17, v55, v52, v17 neg_lo:[1,1,0]
	;; [unrolled: 1-line block ×8, first 2 shown]
	s_waitcnt vmcnt(2)
	v_dot4_i32_iu8 v20, v56, v51, v20 neg_lo:[1,1,0]
	v_dot4_i32_iu8 v21, v56, v52, v21 neg_lo:[1,1,0]
	;; [unrolled: 1-line block ×8, first 2 shown]
	v_lshrrev_b32_e32 v75, 24, v63
	v_lshrrev_b32_e32 v80, 24, v65
	;; [unrolled: 1-line block ×8, first 2 shown]
	v_and_b32_e32 v111, 0xffffff00, v45
	v_lshrrev_b16 v112, 8, v46
	v_and_b32_e32 v32, 0xff, v74
	v_and_b32_e32 v33, 0xffffff00, v76
	v_lshlrev_b16 v74, 8, v76
	v_or_b32_e32 v73, v73, v77
	v_and_b32_e32 v76, 0xff, v79
	v_and_b32_e32 v77, 0xffffff00, v81
	v_lshlrev_b16 v79, 8, v81
	v_or_b32_e32 v78, v78, v82
	v_and_b32_e32 v81, 0xffffff00, v83
	v_lshlrev_b16 v82, 8, v83
	v_and_b32_e32 v83, 0xff, v85
	v_or_b32_e32 v85, v87, v86
	v_and_b32_e32 v86, 0xffffff00, v88
	v_lshlrev_b16 v87, 8, v88
	v_and_b32_e32 v88, 0xff, v90
	v_or_b32_e32 v90, v92, v91
	v_and_b32_e32 v91, 0xff, v94
	v_and_b32_e32 v92, 0xffffff00, v96
	v_lshlrev_b16 v94, 8, v96
	v_or_b32_e32 v93, v93, v97
	v_and_b32_e32 v96, 0xff, v99
	v_and_b32_e32 v97, 0xffffff00, v101
	v_lshlrev_b16 v99, 8, v101
	v_or_b32_e32 v98, v98, v102
	v_and_b32_e32 v101, 0xffffff00, v103
	v_lshlrev_b16 v102, 8, v103
	v_and_b32_e32 v103, 0xff, v105
	v_or_b32_e32 v105, v107, v106
	v_and_b32_e32 v106, 0xffffff00, v108
	v_lshlrev_b16 v107, 8, v108
	v_and_b32_e32 v108, 0xff, v110
	s_clause 0x2
	scratch_store_b128 off, v[47:50], off offset:32
	scratch_store_b128 off, v[51:54], off offset:48
	scratch_store_b128 off, v[55:58], off
	s_waitcnt lgkmcnt(0)
	scratch_store_b128 off, v[59:62], off offset:16
	v_dot4_i32_iu8 v12, v58, v47, v12 neg_lo:[1,1,0]
	v_dot4_i32_iu8 v13, v58, v48, v13 neg_lo:[1,1,0]
	;; [unrolled: 1-line block ×4, first 2 shown]
	s_waitcnt vmcnt(1)
	v_dot4_i32_iu8 v24, v57, v51, v24 neg_lo:[1,1,0]
	v_dot4_i32_iu8 v25, v57, v52, v25 neg_lo:[1,1,0]
	;; [unrolled: 1-line block ×4, first 2 shown]
	s_waitcnt vmcnt(0)
	v_dot4_i32_iu8 v28, v58, v51, v28 neg_lo:[1,1,0]
	v_dot4_i32_iu8 v29, v58, v52, v29 neg_lo:[1,1,0]
	;; [unrolled: 1-line block ×4, first 2 shown]
	s_clause 0x7
	scratch_store_b128 off, v[0:3], off offset:144
	scratch_store_b128 off, v[16:19], off offset:160
	;; [unrolled: 1-line block ×8, first 2 shown]
	v_mov_b32_e32 v0, 64
	v_mov_b32_e32 v2, 0x190
	;; [unrolled: 1-line block ×5, first 2 shown]
	v_dual_mov_b32 v10, 0x1a0 :: v_dual_mov_b32 v1, s1
	v_mov_b32_e32 v3, s1
	v_mov_b32_e32 v5, s1
	;; [unrolled: 1-line block ×5, first 2 shown]
	v_or_b32_e32 v110, v112, v111
	v_or_b32_e32 v75, v75, v33
	;; [unrolled: 1-line block ×17, first 2 shown]
	s_swappc_b64 s[30:31], s[8:9]
	s_clause 0xe
	scratch_load_b32 v94, off, off offset:16
	scratch_load_b32 v95, off, off offset:32
	scratch_load_b128 v[0:3], off, off offset:272
	scratch_load_b128 v[4:7], off, off offset:32
	;; [unrolled: 1-line block ×6, first 2 shown]
	scratch_load_b32 v8, off, off offset:48
	scratch_load_b128 v[24:27], off, off offset:288
	scratch_load_b128 v[28:31], off, off offset:48
	;; [unrolled: 1-line block ×5, first 2 shown]
	scratch_load_b64 v[32:33], off, off offset:432
	s_waitcnt vmcnt(11)
	v_lshlrev_b16 v4, 8, v64
	s_waitcnt vmcnt(4)
	v_and_b32_e32 v28, 0xff, v63
	v_lshlrev_b16 v59, 8, v66
	v_and_b32_e32 v60, 0xff, v65
	v_and_b32_e32 v61, 0xffff, v73
	v_lshlrev_b32_e32 v62, 16, v78
	v_and_b32_e32 v63, 0xffff, v74
	v_lshlrev_b32_e32 v64, 16, v76
	v_lshlrev_b16 v69, 8, v69
	v_and_b32_e32 v70, 0xff, v70
	v_lshlrev_b16 v67, 8, v67
	v_and_b32_e32 v68, 0xff, v68
	v_or_b32_e32 v4, v28, v4
	v_or_b32_e32 v28, v60, v59
	;; [unrolled: 1-line block ×6, first 2 shown]
	v_and_b32_e32 v4, 0xffff, v4
	v_lshlrev_b32_e32 v28, 16, v28
	v_and_b32_e32 v65, 0xffff, v75
	v_lshlrev_b32_e32 v66, 16, v77
	;; [unrolled: 2-line block ×6, first 2 shown]
	v_or_b32_e32 v59, v4, v28
	v_or_b32_e32 v62, v65, v66
	v_or_b32_e32 v64, v73, v74
	v_or_b32_e32 v65, v75, v76
	v_or_b32_e32 v66, v77, v78
	v_or_b32_e32 v63, v67, v63
	v_dot4_i32_iu8 v0, v94, v95, v0 neg_lo:[1,1,0]
	v_dot4_i32_iu8 v1, v94, v5, v1 neg_lo:[1,1,0]
	;; [unrolled: 1-line block ×19, first 2 shown]
	s_waitcnt vmcnt(3)
	v_dot4_i32_iu8 v24, v9, v8, v47 neg_lo:[1,1,0]
	v_dot4_i32_iu8 v25, v9, v29, v48 neg_lo:[1,1,0]
	;; [unrolled: 1-line block ×4, first 2 shown]
	s_waitcnt vmcnt(0)
	v_add_co_u32 v28, vcc_lo, v32, v34
	v_dot4_i32_iu8 v16, v10, v95, v16 neg_lo:[1,1,0]
	v_dot4_i32_iu8 v47, v10, v8, v51 neg_lo:[1,1,0]
	;; [unrolled: 1-line block ×9, first 2 shown]
	v_add_co_ci_u32_e32 v29, vcc_lo, 0, v33, vcc_lo
	s_clause 0x7
	scratch_store_b128 off, v[0:3], off offset:272
	scratch_store_b128 off, v[20:23], off offset:288
	;; [unrolled: 1-line block ×8, first 2 shown]
	s_clause 0x1
	flat_store_b128 v[28:29], v[59:62]
	flat_store_b128 v[28:29], v[63:66] offset:512
	scratch_load_b64 v[8:9], off, off offset:448
	v_lshlrev_b16 v0, 8, v44
	v_and_b32_e32 v1, 0xff, v43
	v_lshlrev_b16 v2, 8, v72
	v_and_b32_e32 v3, 0xff, v71
	v_and_b32_e32 v4, 0xffff, v93
	v_lshlrev_b32_e32 v5, 16, v98
	v_and_b32_e32 v10, 0xffff, v83
	v_lshlrev_b32_e32 v11, 16, v86
	v_lshlrev_b16 v12, 8, v45
	v_and_b32_e32 v13, 0xff, v46
	v_lshlrev_b16 v14, 8, v36
	v_and_b32_e32 v15, 0xff, v42
	v_or_b32_e32 v0, v1, v0
	v_or_b32_e32 v22, v3, v2
	v_or_b32_e32 v1, v4, v5
	v_or_b32_e32 v3, v10, v11
	v_or_b32_e32 v4, v13, v12
	v_or_b32_e32 v10, v15, v14
	v_and_b32_e32 v6, 0xffff, v84
	v_lshlrev_b32_e32 v7, 16, v87
	v_and_b32_e32 v0, 0xffff, v0
	v_lshlrev_b32_e32 v11, 16, v22
	;; [unrolled: 2-line block ×6, first 2 shown]
	v_or_b32_e32 v2, v6, v7
	v_or_b32_e32 v0, v0, v11
	;; [unrolled: 1-line block ×6, first 2 shown]
	s_waitcnt vmcnt(0)
	v_add_co_u32 v10, vcc_lo, v8, v34
	v_add_co_ci_u32_e32 v11, vcc_lo, 0, v9, vcc_lo
	s_clause 0x1
	flat_store_b128 v[10:11], v[0:3]
	flat_store_b128 v[10:11], v[4:7] offset:512
	s_waitcnt lgkmcnt(0)
	s_waitcnt_vscnt null, 0x0
	s_barrier
	s_clause 0x1
	scratch_load_b32 v0, off, off offset:80
	scratch_load_b32 v4, off, off offset:112
	s_clause 0x3
	scratch_store_b128 off, v[38:41], off
	scratch_store_b128 off, v[38:41], off offset:16
	scratch_store_b128 off, v[38:41], off offset:32
	;; [unrolled: 1-line block ×3, first 2 shown]
	s_waitcnt vmcnt(1)
	v_ashrrev_i32_e32 v1, 31, v0
	v_add_co_u32 v32, vcc_lo, v32, v0
	s_waitcnt vmcnt(0)
	v_ashrrev_i32_e32 v5, 31, v4
	s_delay_alu instid0(VALU_DEP_3) | instskip(SKIP_1) | instid1(VALU_DEP_3)
	v_add_co_ci_u32_e32 v33, vcc_lo, v33, v1, vcc_lo
	v_add_co_u32 v8, vcc_lo, v8, v4
	v_add_co_ci_u32_e32 v9, vcc_lo, v9, v5, vcc_lo
	flat_load_b128 v[0:3], v[32:33]
	s_waitcnt vmcnt(0) lgkmcnt(0)
	scratch_store_b128 off, v[0:3], off
	flat_load_b128 v[4:7], v[8:9]
	s_waitcnt vmcnt(0) lgkmcnt(0)
	scratch_store_b128 off, v[4:7], off offset:32
	flat_load_b128 v[8:11], v[8:9] offset:256
	s_clause 0x7
	scratch_load_b128 v[12:15], off, off offset:144
	scratch_load_b128 v[16:19], off, off offset:176
	;; [unrolled: 1-line block ×8, first 2 shown]
	s_waitcnt vmcnt(8) lgkmcnt(0)
	scratch_store_b128 off, v[8:11], off offset:48
	flat_load_b128 v[50:53], v[32:33] offset:256
	s_waitcnt vmcnt(8)
	v_dot4_i32_iu8 v12, v0, v4, v12 neg_lo:[1,1,0]
	v_dot4_i32_iu8 v13, v0, v5, v13 neg_lo:[1,1,0]
	v_dot4_i32_iu8 v14, v0, v6, v14 neg_lo:[1,1,0]
	v_dot4_i32_iu8 v15, v0, v7, v15 neg_lo:[1,1,0]
	s_waitcnt vmcnt(7)
	v_dot4_i32_iu8 v16, v1, v4, v16 neg_lo:[1,1,0]
	v_dot4_i32_iu8 v17, v1, v5, v17 neg_lo:[1,1,0]
	v_dot4_i32_iu8 v18, v1, v6, v18 neg_lo:[1,1,0]
	v_dot4_i32_iu8 v19, v1, v7, v19 neg_lo:[1,1,0]
	;; [unrolled: 5-line block ×7, first 2 shown]
	s_waitcnt vmcnt(1)
	v_dot4_i32_iu8 v0, v3, v8, v46 neg_lo:[1,1,0]
	v_dot4_i32_iu8 v1, v3, v9, v47 neg_lo:[1,1,0]
	;; [unrolled: 1-line block ×3, first 2 shown]
	v_mov_b32_e32 v10, 0x1c0
	v_dot4_i32_iu8 v3, v3, v11, v49 neg_lo:[1,1,0]
	v_dual_mov_b32 v8, 0x90 :: v_dual_mov_b32 v9, s1
	v_mov_b32_e32 v11, s1
	s_clause 0x7
	scratch_store_b128 off, v[12:15], off offset:144
	scratch_store_b128 off, v[24:27], off offset:160
	scratch_store_b128 off, v[16:19], off offset:176
	scratch_store_b128 off, v[28:31], off offset:192
	scratch_store_b128 off, v[20:23], off offset:208
	scratch_store_b128 off, v[38:41], off offset:224
	scratch_store_b128 off, v[4:7], off offset:240
	scratch_store_b128 off, v[0:3], off offset:256
	s_waitcnt vmcnt(0) lgkmcnt(0)
	scratch_store_b128 off, v[50:53], off offset:16
	v_dual_mov_b32 v0, 64 :: v_dual_mov_b32 v1, s1
	v_dual_mov_b32 v2, 0x1b0 :: v_dual_mov_b32 v3, s1
	;; [unrolled: 1-line block ×4, first 2 shown]
	s_swappc_b64 s[30:31], s[8:9]
	s_clause 0x15
	scratch_load_b32 v32, off, off offset:16
	scratch_load_b32 v33, off, off offset:32
	scratch_load_b128 v[0:3], off, off offset:272
	scratch_load_b128 v[4:7], off, off offset:32
	scratch_load_b128 v[8:11], off, off offset:16
	scratch_load_b128 v[12:15], off, off offset:304
	scratch_load_b128 v[16:19], off, off offset:336
	scratch_load_b128 v[20:23], off, off offset:368
	scratch_load_b32 v4, off, off offset:48
	scratch_load_b128 v[24:27], off, off offset:288
	scratch_load_b128 v[28:31], off, off offset:48
	;; [unrolled: 1-line block ×13, first 2 shown]
	s_waitcnt vmcnt(11)
	v_add_nc_u32_e32 v28, s13, v35
	s_lshl_b32 s0, s12, 6
	s_delay_alu instid0(VALU_DEP_1) | instskip(NEXT) | instid1(VALU_DEP_1)
	v_mul_lo_u32 v28, v28, s12
	v_add3_u32 v28, s7, v37, v28
	s_mov_b32 s7, s3
	v_dot4_i32_iu8 v24, v32, v4, v24 neg_lo:[1,1,0]
	v_dot4_i32_iu8 v25, v32, v29, v25 neg_lo:[1,1,0]
	;; [unrolled: 1-line block ×4, first 2 shown]
	s_waitcnt vmcnt(8)
	v_dot4_i32_iu8 v46, v11, v4, v46 neg_lo:[1,1,0]
	v_dot4_i32_iu8 v47, v11, v29, v47 neg_lo:[1,1,0]
	;; [unrolled: 1-line block ×23, first 2 shown]
	s_clause 0x1
	scratch_store_b128 off, v[20:23], off offset:368
	scratch_store_b128 off, v[46:49], off offset:384
	v_dot4_i32_iu8 v39, v9, v29, v39 neg_lo:[1,1,0]
	v_dot4_i32_iu8 v40, v9, v30, v40 neg_lo:[1,1,0]
	;; [unrolled: 1-line block ×5, first 2 shown]
	s_clause 0x1
	scratch_load_b128 v[20:23], off, off offset:368
	scratch_load_b128 v[46:49], off, off offset:384
	s_clause 0x1
	scratch_store_b128 off, v[16:19], off offset:336
	scratch_store_b128 off, v[42:45], off offset:352
	s_clause 0x1
	scratch_load_b128 v[16:19], off, off offset:352
	scratch_load_b128 v[8:11], off, off offset:336
	s_clause 0x1
	scratch_store_b128 off, v[12:15], off offset:304
	scratch_store_b128 off, v[38:41], off offset:320
	;; [unrolled: 6-line block ×3, first 2 shown]
	s_clause 0x1
	scratch_load_b128 v[24:27], off, off offset:288
	scratch_load_b128 v[0:3], off, off offset:272
	v_add_nc_u32_e32 v29, s12, v28
	s_waitcnt vmcnt(15)
	v_lshlrev_b32_e32 v40, 8, v51
	v_lshlrev_b32_e32 v41, 16, v52
	s_waitcnt vmcnt(14)
	v_lshlrev_b32_e32 v43, 8, v55
	v_lshlrev_b32_e32 v44, 16, v56
	v_add_nc_u32_e32 v30, s12, v29
	s_waitcnt vmcnt(13)
	v_lshlrev_b32_e32 v51, 8, v59
	v_lshlrev_b32_e32 v52, 16, v60
	s_waitcnt vmcnt(12)
	v_lshlrev_b32_e32 v55, 8, v63
	v_lshlrev_b32_e32 v56, 16, v64
	v_add_nc_u32_e32 v31, 64, v30
	s_waitcnt vmcnt(11)
	v_lshlrev_b32_e32 v59, 8, v67
	v_lshlrev_b32_e32 v60, 16, v68
	;; [unrolled: 1-line block ×3, first 2 shown]
	s_waitcnt vmcnt(10)
	v_lshlrev_b32_e32 v63, 8, v71
	v_lshlrev_b32_e32 v64, 16, v72
	s_waitcnt vmcnt(9)
	v_lshlrev_b32_e32 v67, 8, v75
	v_lshlrev_b32_e32 v68, 16, v76
	;; [unrolled: 3-line block ×3, first 2 shown]
	v_perm_b32 v40, v40, v50, 0xc0c0500
	v_and_b32_e32 v41, 0xff0000, v41
	v_lshlrev_b32_e32 v45, 24, v57
	v_perm_b32 v43, v43, v54, 0xc0c0500
	v_and_b32_e32 v44, 0xff0000, v44
	v_lshlrev_b32_e32 v53, 24, v61
	;; [unrolled: 3-line block ×3, first 2 shown]
	v_perm_b32 v52, v55, v62, 0xc0c0500
	v_and_b32_e32 v54, 0xff0000, v56
	v_add_nc_u32_e32 v32, s0, v31
	v_lshlrev_b32_e32 v61, 24, v69
	v_perm_b32 v55, v59, v66, 0xc0c0500
	v_and_b32_e32 v56, 0xff0000, v60
	v_lshlrev_b32_e32 v65, 24, v73
	v_lshlrev_b32_e32 v69, 24, v77
	;; [unrolled: 1-line block ×3, first 2 shown]
	v_perm_b32 v58, v63, v70, 0xc0c0500
	v_and_b32_e32 v59, 0xff0000, v64
	v_perm_b32 v60, v67, v74, 0xc0c0500
	v_and_b32_e32 v62, 0xff0000, v68
	v_perm_b32 v63, v71, v78, 0xc0c0500
	v_and_b32_e32 v64, 0xff0000, v72
	v_or3_b32 v40, v40, v41, v42
	v_or3_b32 v41, v43, v44, v45
	v_add_nc_u32_e32 v37, 64, v29
	v_or3_b32 v42, v50, v51, v53
	v_or3_b32 v43, v52, v54, v57
	v_subrev_nc_u32_e32 v33, 64, v32
	v_or3_b32 v44, v55, v56, v61
	v_add_nc_u32_e32 v35, s12, v30
	v_add_nc_u32_e32 v31, s12, v31
	v_or3_b32 v45, v58, v59, v65
	v_or3_b32 v50, v60, v62, v69
	;; [unrolled: 1-line block ×3, first 2 shown]
	s_clause 0x7
	buffer_store_b32 v40, v28, s[4:7], 0 offen
	buffer_store_b32 v41, v28, s[4:7], 0 offen offset:64
	buffer_store_b32 v42, v37, s[4:7], 0 offen
	buffer_store_b32 v43, v29, s[4:7], 0 offen
	buffer_store_b32 v44, v30, s[4:7], 0 offen
	buffer_store_b32 v45, v30, s[4:7], 0 offen offset:64
	buffer_store_b32 v50, v31, s[4:7], 0 offen
	buffer_store_b32 v51, v35, s[4:7], 0 offen
	v_subrev_nc_u32_e32 v34, s12, v33
	v_add_nc_u32_e32 v38, s0, v35
	s_delay_alu instid0(VALU_DEP_2) | instskip(NEXT) | instid1(VALU_DEP_1)
	v_subrev_nc_u32_e32 v36, s12, v34
	v_add_nc_u32_e32 v39, 64, v36
	s_waitcnt vmcnt(7)
	v_lshlrev_b32_e32 v21, 8, v21
	v_lshlrev_b32_e32 v22, 16, v22
	s_waitcnt vmcnt(6)
	v_lshlrev_b32_e32 v28, 8, v47
	v_lshlrev_b32_e32 v29, 16, v48
	;; [unrolled: 3-line block ×5, first 2 shown]
	v_lshlrev_b32_e32 v23, 24, v23
	s_waitcnt vmcnt(2)
	v_lshlrev_b32_e32 v5, 8, v5
	v_lshlrev_b32_e32 v6, 16, v6
	s_waitcnt vmcnt(1)
	v_lshlrev_b32_e32 v25, 8, v25
	;; [unrolled: 3-line block ×3, first 2 shown]
	v_lshlrev_b32_e32 v2, 16, v2
	v_perm_b32 v20, v21, v20, 0xc0c0500
	v_and_b32_e32 v21, 0xff0000, v22
	v_lshlrev_b32_e32 v30, 24, v49
	v_perm_b32 v22, v28, v46, 0xc0c0500
	v_and_b32_e32 v28, 0xff0000, v29
	;; [unrolled: 3-line block ×5, first 2 shown]
	v_lshlrev_b32_e32 v7, 24, v7
	v_lshlrev_b32_e32 v27, 24, v27
	;; [unrolled: 1-line block ×3, first 2 shown]
	v_perm_b32 v4, v5, v4, 0xc0c0500
	v_and_b32_e32 v5, 0xff0000, v6
	v_perm_b32 v6, v25, v24, 0xc0c0500
	v_and_b32_e32 v13, 0xff0000, v26
	;; [unrolled: 2-line block ×3, first 2 shown]
	v_or3_b32 v2, v20, v21, v23
	v_or3_b32 v14, v22, v28, v30
	;; [unrolled: 1-line block ×8, first 2 shown]
	s_clause 0x7
	buffer_store_b32 v2, v38, s[4:7], 0 offen
	buffer_store_b32 v14, v38, s[4:7], 0 offen offset:64
	buffer_store_b32 v16, v32, s[4:7], 0 offen
	buffer_store_b32 v8, v33, s[4:7], 0 offen
	;; [unrolled: 1-line block ×3, first 2 shown]
	buffer_store_b32 v4, v34, s[4:7], 0 offen offset:64
	buffer_store_b32 v5, v39, s[4:7], 0 offen
	buffer_store_b32 v0, v36, s[4:7], 0 offen
	s_endpgm
	.section	.rodata,"a",@progbits
	.p2align	6, 0x0
	.amdhsa_kernel _ZN2ck19kernel_gemm_dl_v1r3INS_28GridwiseGemmDl_km_kn_mn_v1r3ILi256EaiaLNS_25InMemoryDataOperationEnumE0ENS_16TensorDescriptorINS_5TupleIJNS_5EmbedINS4_IJiiEEENS4_IJNS_17integral_constantIiLi1EEEiEEELb0EEENS_7UnMergeINS4_IJiNS7_IiLi4EEEEEELb0EEENS_11PassThroughIiEEEEENS4_IJNS_8SequenceIJLi0EEEENSI_IJLi2EEEENSI_IJLi1EEEEEEENS4_IJNSI_IJLi1ELi2EEEENSI_IJLi3ELi4EEEENSI_IJLi5EEEEEEENSI_IJLi3ELi5ELi4EEEElEENS3_INS4_IJNS5_IS6_NS4_IJiS8_EEELb0EEESE_SG_EEENS4_IJSJ_SL_SK_EEESQ_SR_lEENS3_INS4_IJSU_SG_SG_EEESW_NS4_IJSN_NSI_IJLi3EEEENSI_IJLi4EEEEEEESO_lEELi128ELi128ELi16ELi4ELi4ELi4ELi1ENSI_IJLi8ELi2EEEES13_NSI_IJLi2ELi1ELi4ELi4EEEENSI_IJLi8ELi1ELi32ELi1EEEENSI_IJLi0ELi3ELi1ELi2EEEES16_NSI_IJLi1ELi1ELi4ELi1EEEES16_NSI_IJLi1ELi1ELi4ELi4EEEES14_S15_S16_S16_S17_S16_S18_NSI_IJLi0ELi1ELi2ELi3ELi4ELi5EEEELi5ELi4EEEaaNS3_INS4_IJSA_SE_SG_SG_NSB_INS4_IJiNS7_IiLi128EEEEEELb0EEENSF_ISC_EEEEENS4_IJSJ_SK_SL_SZ_SP_S10_EEENS4_IJSN_SO_SP_NSI_IJLi6EEEENSI_IJLi7ELi8EEEENSI_IJLi9EEEEEEENSI_IJLi6ELi7ELi8ELi9EEEElEENS3_INS4_IJSU_SE_SG_SG_S1D_S1E_EEENS4_IJSJ_SL_SK_SZ_SP_S10_EEES1K_S1L_lEENS3_INS4_IJSU_SG_SG_NSB_INS4_IJiNS7_IiLi2EEENS7_IiLi64EEEEEELb0EEES1T_EEENS4_IJSJ_SL_SK_SZ_S10_EEENS4_IJSN_SZ_S10_NSI_IJLi5ELi6ELi7EEEENSI_IJLi8ELi9ELi10EEEEEEENSI_IJLi5ELi6ELi7ELi8ELi9ELi10EEEElEENS_31BlockToCTileMap_M00_N00_M01_N01ILi128ELi128ES12_Lb0EEELb0ELb1EEEvPKT0_S25_PT1_T2_T3_T4_T5_
		.amdhsa_group_segment_fixed_size 32768
		.amdhsa_private_segment_fixed_size 480
		.amdhsa_kernarg_size 328
		.amdhsa_user_sgpr_count 15
		.amdhsa_user_sgpr_dispatch_ptr 0
		.amdhsa_user_sgpr_queue_ptr 0
		.amdhsa_user_sgpr_kernarg_segment_ptr 1
		.amdhsa_user_sgpr_dispatch_id 0
		.amdhsa_user_sgpr_private_segment_size 0
		.amdhsa_wavefront_size32 1
		.amdhsa_uses_dynamic_stack 0
		.amdhsa_enable_private_segment 1
		.amdhsa_system_sgpr_workgroup_id_x 1
		.amdhsa_system_sgpr_workgroup_id_y 0
		.amdhsa_system_sgpr_workgroup_id_z 0
		.amdhsa_system_sgpr_workgroup_info 0
		.amdhsa_system_vgpr_workitem_id 0
		.amdhsa_next_free_vgpr 113
		.amdhsa_next_free_sgpr 40
		.amdhsa_reserve_vcc 1
		.amdhsa_float_round_mode_32 0
		.amdhsa_float_round_mode_16_64 0
		.amdhsa_float_denorm_mode_32 3
		.amdhsa_float_denorm_mode_16_64 3
		.amdhsa_dx10_clamp 1
		.amdhsa_ieee_mode 1
		.amdhsa_fp16_overflow 0
		.amdhsa_workgroup_processor_mode 1
		.amdhsa_memory_ordered 1
		.amdhsa_forward_progress 0
		.amdhsa_shared_vgpr_count 0
		.amdhsa_exception_fp_ieee_invalid_op 0
		.amdhsa_exception_fp_denorm_src 0
		.amdhsa_exception_fp_ieee_div_zero 0
		.amdhsa_exception_fp_ieee_overflow 0
		.amdhsa_exception_fp_ieee_underflow 0
		.amdhsa_exception_fp_ieee_inexact 0
		.amdhsa_exception_int_div_zero 0
	.end_amdhsa_kernel
	.section	.text._ZN2ck19kernel_gemm_dl_v1r3INS_28GridwiseGemmDl_km_kn_mn_v1r3ILi256EaiaLNS_25InMemoryDataOperationEnumE0ENS_16TensorDescriptorINS_5TupleIJNS_5EmbedINS4_IJiiEEENS4_IJNS_17integral_constantIiLi1EEEiEEELb0EEENS_7UnMergeINS4_IJiNS7_IiLi4EEEEEELb0EEENS_11PassThroughIiEEEEENS4_IJNS_8SequenceIJLi0EEEENSI_IJLi2EEEENSI_IJLi1EEEEEEENS4_IJNSI_IJLi1ELi2EEEENSI_IJLi3ELi4EEEENSI_IJLi5EEEEEEENSI_IJLi3ELi5ELi4EEEElEENS3_INS4_IJNS5_IS6_NS4_IJiS8_EEELb0EEESE_SG_EEENS4_IJSJ_SL_SK_EEESQ_SR_lEENS3_INS4_IJSU_SG_SG_EEESW_NS4_IJSN_NSI_IJLi3EEEENSI_IJLi4EEEEEEESO_lEELi128ELi128ELi16ELi4ELi4ELi4ELi1ENSI_IJLi8ELi2EEEES13_NSI_IJLi2ELi1ELi4ELi4EEEENSI_IJLi8ELi1ELi32ELi1EEEENSI_IJLi0ELi3ELi1ELi2EEEES16_NSI_IJLi1ELi1ELi4ELi1EEEES16_NSI_IJLi1ELi1ELi4ELi4EEEES14_S15_S16_S16_S17_S16_S18_NSI_IJLi0ELi1ELi2ELi3ELi4ELi5EEEELi5ELi4EEEaaNS3_INS4_IJSA_SE_SG_SG_NSB_INS4_IJiNS7_IiLi128EEEEEELb0EEENSF_ISC_EEEEENS4_IJSJ_SK_SL_SZ_SP_S10_EEENS4_IJSN_SO_SP_NSI_IJLi6EEEENSI_IJLi7ELi8EEEENSI_IJLi9EEEEEEENSI_IJLi6ELi7ELi8ELi9EEEElEENS3_INS4_IJSU_SE_SG_SG_S1D_S1E_EEENS4_IJSJ_SL_SK_SZ_SP_S10_EEES1K_S1L_lEENS3_INS4_IJSU_SG_SG_NSB_INS4_IJiNS7_IiLi2EEENS7_IiLi64EEEEEELb0EEES1T_EEENS4_IJSJ_SL_SK_SZ_S10_EEENS4_IJSN_SZ_S10_NSI_IJLi5ELi6ELi7EEEENSI_IJLi8ELi9ELi10EEEEEEENSI_IJLi5ELi6ELi7ELi8ELi9ELi10EEEElEENS_31BlockToCTileMap_M00_N00_M01_N01ILi128ELi128ES12_Lb0EEELb0ELb1EEEvPKT0_S25_PT1_T2_T3_T4_T5_,"axG",@progbits,_ZN2ck19kernel_gemm_dl_v1r3INS_28GridwiseGemmDl_km_kn_mn_v1r3ILi256EaiaLNS_25InMemoryDataOperationEnumE0ENS_16TensorDescriptorINS_5TupleIJNS_5EmbedINS4_IJiiEEENS4_IJNS_17integral_constantIiLi1EEEiEEELb0EEENS_7UnMergeINS4_IJiNS7_IiLi4EEEEEELb0EEENS_11PassThroughIiEEEEENS4_IJNS_8SequenceIJLi0EEEENSI_IJLi2EEEENSI_IJLi1EEEEEEENS4_IJNSI_IJLi1ELi2EEEENSI_IJLi3ELi4EEEENSI_IJLi5EEEEEEENSI_IJLi3ELi5ELi4EEEElEENS3_INS4_IJNS5_IS6_NS4_IJiS8_EEELb0EEESE_SG_EEENS4_IJSJ_SL_SK_EEESQ_SR_lEENS3_INS4_IJSU_SG_SG_EEESW_NS4_IJSN_NSI_IJLi3EEEENSI_IJLi4EEEEEEESO_lEELi128ELi128ELi16ELi4ELi4ELi4ELi1ENSI_IJLi8ELi2EEEES13_NSI_IJLi2ELi1ELi4ELi4EEEENSI_IJLi8ELi1ELi32ELi1EEEENSI_IJLi0ELi3ELi1ELi2EEEES16_NSI_IJLi1ELi1ELi4ELi1EEEES16_NSI_IJLi1ELi1ELi4ELi4EEEES14_S15_S16_S16_S17_S16_S18_NSI_IJLi0ELi1ELi2ELi3ELi4ELi5EEEELi5ELi4EEEaaNS3_INS4_IJSA_SE_SG_SG_NSB_INS4_IJiNS7_IiLi128EEEEEELb0EEENSF_ISC_EEEEENS4_IJSJ_SK_SL_SZ_SP_S10_EEENS4_IJSN_SO_SP_NSI_IJLi6EEEENSI_IJLi7ELi8EEEENSI_IJLi9EEEEEEENSI_IJLi6ELi7ELi8ELi9EEEElEENS3_INS4_IJSU_SE_SG_SG_S1D_S1E_EEENS4_IJSJ_SL_SK_SZ_SP_S10_EEES1K_S1L_lEENS3_INS4_IJSU_SG_SG_NSB_INS4_IJiNS7_IiLi2EEENS7_IiLi64EEEEEELb0EEES1T_EEENS4_IJSJ_SL_SK_SZ_S10_EEENS4_IJSN_SZ_S10_NSI_IJLi5ELi6ELi7EEEENSI_IJLi8ELi9ELi10EEEEEEENSI_IJLi5ELi6ELi7ELi8ELi9ELi10EEEElEENS_31BlockToCTileMap_M00_N00_M01_N01ILi128ELi128ES12_Lb0EEELb0ELb1EEEvPKT0_S25_PT1_T2_T3_T4_T5_,comdat
.Lfunc_end4:
	.size	_ZN2ck19kernel_gemm_dl_v1r3INS_28GridwiseGemmDl_km_kn_mn_v1r3ILi256EaiaLNS_25InMemoryDataOperationEnumE0ENS_16TensorDescriptorINS_5TupleIJNS_5EmbedINS4_IJiiEEENS4_IJNS_17integral_constantIiLi1EEEiEEELb0EEENS_7UnMergeINS4_IJiNS7_IiLi4EEEEEELb0EEENS_11PassThroughIiEEEEENS4_IJNS_8SequenceIJLi0EEEENSI_IJLi2EEEENSI_IJLi1EEEEEEENS4_IJNSI_IJLi1ELi2EEEENSI_IJLi3ELi4EEEENSI_IJLi5EEEEEEENSI_IJLi3ELi5ELi4EEEElEENS3_INS4_IJNS5_IS6_NS4_IJiS8_EEELb0EEESE_SG_EEENS4_IJSJ_SL_SK_EEESQ_SR_lEENS3_INS4_IJSU_SG_SG_EEESW_NS4_IJSN_NSI_IJLi3EEEENSI_IJLi4EEEEEEESO_lEELi128ELi128ELi16ELi4ELi4ELi4ELi1ENSI_IJLi8ELi2EEEES13_NSI_IJLi2ELi1ELi4ELi4EEEENSI_IJLi8ELi1ELi32ELi1EEEENSI_IJLi0ELi3ELi1ELi2EEEES16_NSI_IJLi1ELi1ELi4ELi1EEEES16_NSI_IJLi1ELi1ELi4ELi4EEEES14_S15_S16_S16_S17_S16_S18_NSI_IJLi0ELi1ELi2ELi3ELi4ELi5EEEELi5ELi4EEEaaNS3_INS4_IJSA_SE_SG_SG_NSB_INS4_IJiNS7_IiLi128EEEEEELb0EEENSF_ISC_EEEEENS4_IJSJ_SK_SL_SZ_SP_S10_EEENS4_IJSN_SO_SP_NSI_IJLi6EEEENSI_IJLi7ELi8EEEENSI_IJLi9EEEEEEENSI_IJLi6ELi7ELi8ELi9EEEElEENS3_INS4_IJSU_SE_SG_SG_S1D_S1E_EEENS4_IJSJ_SL_SK_SZ_SP_S10_EEES1K_S1L_lEENS3_INS4_IJSU_SG_SG_NSB_INS4_IJiNS7_IiLi2EEENS7_IiLi64EEEEEELb0EEES1T_EEENS4_IJSJ_SL_SK_SZ_S10_EEENS4_IJSN_SZ_S10_NSI_IJLi5ELi6ELi7EEEENSI_IJLi8ELi9ELi10EEEEEEENSI_IJLi5ELi6ELi7ELi8ELi9ELi10EEEElEENS_31BlockToCTileMap_M00_N00_M01_N01ILi128ELi128ES12_Lb0EEELb0ELb1EEEvPKT0_S25_PT1_T2_T3_T4_T5_, .Lfunc_end4-_ZN2ck19kernel_gemm_dl_v1r3INS_28GridwiseGemmDl_km_kn_mn_v1r3ILi256EaiaLNS_25InMemoryDataOperationEnumE0ENS_16TensorDescriptorINS_5TupleIJNS_5EmbedINS4_IJiiEEENS4_IJNS_17integral_constantIiLi1EEEiEEELb0EEENS_7UnMergeINS4_IJiNS7_IiLi4EEEEEELb0EEENS_11PassThroughIiEEEEENS4_IJNS_8SequenceIJLi0EEEENSI_IJLi2EEEENSI_IJLi1EEEEEEENS4_IJNSI_IJLi1ELi2EEEENSI_IJLi3ELi4EEEENSI_IJLi5EEEEEEENSI_IJLi3ELi5ELi4EEEElEENS3_INS4_IJNS5_IS6_NS4_IJiS8_EEELb0EEESE_SG_EEENS4_IJSJ_SL_SK_EEESQ_SR_lEENS3_INS4_IJSU_SG_SG_EEESW_NS4_IJSN_NSI_IJLi3EEEENSI_IJLi4EEEEEEESO_lEELi128ELi128ELi16ELi4ELi4ELi4ELi1ENSI_IJLi8ELi2EEEES13_NSI_IJLi2ELi1ELi4ELi4EEEENSI_IJLi8ELi1ELi32ELi1EEEENSI_IJLi0ELi3ELi1ELi2EEEES16_NSI_IJLi1ELi1ELi4ELi1EEEES16_NSI_IJLi1ELi1ELi4ELi4EEEES14_S15_S16_S16_S17_S16_S18_NSI_IJLi0ELi1ELi2ELi3ELi4ELi5EEEELi5ELi4EEEaaNS3_INS4_IJSA_SE_SG_SG_NSB_INS4_IJiNS7_IiLi128EEEEEELb0EEENSF_ISC_EEEEENS4_IJSJ_SK_SL_SZ_SP_S10_EEENS4_IJSN_SO_SP_NSI_IJLi6EEEENSI_IJLi7ELi8EEEENSI_IJLi9EEEEEEENSI_IJLi6ELi7ELi8ELi9EEEElEENS3_INS4_IJSU_SE_SG_SG_S1D_S1E_EEENS4_IJSJ_SL_SK_SZ_SP_S10_EEES1K_S1L_lEENS3_INS4_IJSU_SG_SG_NSB_INS4_IJiNS7_IiLi2EEENS7_IiLi64EEEEEELb0EEES1T_EEENS4_IJSJ_SL_SK_SZ_S10_EEENS4_IJSN_SZ_S10_NSI_IJLi5ELi6ELi7EEEENSI_IJLi8ELi9ELi10EEEEEEENSI_IJLi5ELi6ELi7ELi8ELi9ELi10EEEElEENS_31BlockToCTileMap_M00_N00_M01_N01ILi128ELi128ES12_Lb0EEELb0ELb1EEEvPKT0_S25_PT1_T2_T3_T4_T5_
                                        ; -- End function
	.section	.AMDGPU.csdata,"",@progbits
; Kernel info:
; codeLenInByte = 6504
; NumSgprs: 42
; NumVgprs: 113
; ScratchSize: 480
; MemoryBound: 0
; FloatMode: 240
; IeeeMode: 1
; LDSByteSize: 32768 bytes/workgroup (compile time only)
; SGPRBlocks: 5
; VGPRBlocks: 14
; NumSGPRsForWavesPerEU: 42
; NumVGPRsForWavesPerEU: 113
; Occupancy: 8
; WaveLimiterHint : 1
; COMPUTE_PGM_RSRC2:SCRATCH_EN: 1
; COMPUTE_PGM_RSRC2:USER_SGPR: 15
; COMPUTE_PGM_RSRC2:TRAP_HANDLER: 0
; COMPUTE_PGM_RSRC2:TGID_X_EN: 1
; COMPUTE_PGM_RSRC2:TGID_Y_EN: 0
; COMPUTE_PGM_RSRC2:TGID_Z_EN: 0
; COMPUTE_PGM_RSRC2:TIDIG_COMP_CNT: 0
	.section	.text._ZN2ck19kernel_gemm_dl_v1r3INS_28GridwiseGemmDl_km_kn_mn_v1r3ILi256EaiaLNS_25InMemoryDataOperationEnumE0ENS_16TensorDescriptorINS_5TupleIJNS_5EmbedINS4_IJiiEEENS4_IJNS_17integral_constantIiLi1EEEiEEELb0EEENS_7UnMergeINS4_IJiNS7_IiLi4EEEEEELb0EEENS_11PassThroughIiEEEEENS4_IJNS_8SequenceIJLi0EEEENSI_IJLi2EEEENSI_IJLi1EEEEEEENS4_IJNSI_IJLi1ELi2EEEENSI_IJLi3ELi4EEEENSI_IJLi5EEEEEEENSI_IJLi3ELi5ELi4EEEElEENS3_INS4_IJNS5_IS6_NS4_IJiS8_EEELb0EEESE_SG_EEENS4_IJSJ_SL_SK_EEESQ_SR_lEENS3_INS4_IJSU_SG_SG_EEESW_NS4_IJSN_NSI_IJLi3EEEENSI_IJLi4EEEEEEESO_lEELi128ELi128ELi16ELi4ELi4ELi4ELi1ENSI_IJLi8ELi2EEEES13_NSI_IJLi2ELi1ELi4ELi4EEEENSI_IJLi8ELi1ELi32ELi1EEEENSI_IJLi0ELi3ELi1ELi2EEEES16_NSI_IJLi1ELi1ELi4ELi1EEEES16_NSI_IJLi1ELi1ELi4ELi4EEEES14_S15_S16_S16_S17_S16_S18_NSI_IJLi0ELi1ELi2ELi3ELi4ELi5EEEELi5ELi4EEEaaNS3_INS4_IJSA_SE_SG_SG_NSB_INS4_IJiNS7_IiLi128EEEEEELb0EEENSF_ISC_EEEEENS4_IJSJ_SK_SL_SZ_SP_S10_EEENS4_IJSN_SO_SP_NSI_IJLi6EEEENSI_IJLi7ELi8EEEENSI_IJLi9EEEEEEENSI_IJLi6ELi7ELi8ELi9EEEElEENS3_INS4_IJSU_SE_SG_SG_S1D_S1E_EEENS4_IJSJ_SL_SK_SZ_SP_S10_EEES1K_S1L_lEENS3_INS4_IJSU_SG_SG_NSB_INS4_IJiNS7_IiLi2EEENS7_IiLi64EEEEEELb0EEES1T_EEENS4_IJSJ_SL_SK_SZ_S10_EEENS4_IJSN_SZ_S10_NSI_IJLi5ELi6ELi7EEEENSI_IJLi8ELi9ELi10EEEEEEENSI_IJLi5ELi6ELi7ELi8ELi9ELi10EEEElEENS_31BlockToCTileMap_M00_N00_M01_N01ILi128ELi128ES12_Lb0EEELb0ELb0EEEvPKT0_S25_PT1_T2_T3_T4_T5_,"axG",@progbits,_ZN2ck19kernel_gemm_dl_v1r3INS_28GridwiseGemmDl_km_kn_mn_v1r3ILi256EaiaLNS_25InMemoryDataOperationEnumE0ENS_16TensorDescriptorINS_5TupleIJNS_5EmbedINS4_IJiiEEENS4_IJNS_17integral_constantIiLi1EEEiEEELb0EEENS_7UnMergeINS4_IJiNS7_IiLi4EEEEEELb0EEENS_11PassThroughIiEEEEENS4_IJNS_8SequenceIJLi0EEEENSI_IJLi2EEEENSI_IJLi1EEEEEEENS4_IJNSI_IJLi1ELi2EEEENSI_IJLi3ELi4EEEENSI_IJLi5EEEEEEENSI_IJLi3ELi5ELi4EEEElEENS3_INS4_IJNS5_IS6_NS4_IJiS8_EEELb0EEESE_SG_EEENS4_IJSJ_SL_SK_EEESQ_SR_lEENS3_INS4_IJSU_SG_SG_EEESW_NS4_IJSN_NSI_IJLi3EEEENSI_IJLi4EEEEEEESO_lEELi128ELi128ELi16ELi4ELi4ELi4ELi1ENSI_IJLi8ELi2EEEES13_NSI_IJLi2ELi1ELi4ELi4EEEENSI_IJLi8ELi1ELi32ELi1EEEENSI_IJLi0ELi3ELi1ELi2EEEES16_NSI_IJLi1ELi1ELi4ELi1EEEES16_NSI_IJLi1ELi1ELi4ELi4EEEES14_S15_S16_S16_S17_S16_S18_NSI_IJLi0ELi1ELi2ELi3ELi4ELi5EEEELi5ELi4EEEaaNS3_INS4_IJSA_SE_SG_SG_NSB_INS4_IJiNS7_IiLi128EEEEEELb0EEENSF_ISC_EEEEENS4_IJSJ_SK_SL_SZ_SP_S10_EEENS4_IJSN_SO_SP_NSI_IJLi6EEEENSI_IJLi7ELi8EEEENSI_IJLi9EEEEEEENSI_IJLi6ELi7ELi8ELi9EEEElEENS3_INS4_IJSU_SE_SG_SG_S1D_S1E_EEENS4_IJSJ_SL_SK_SZ_SP_S10_EEES1K_S1L_lEENS3_INS4_IJSU_SG_SG_NSB_INS4_IJiNS7_IiLi2EEENS7_IiLi64EEEEEELb0EEES1T_EEENS4_IJSJ_SL_SK_SZ_S10_EEENS4_IJSN_SZ_S10_NSI_IJLi5ELi6ELi7EEEENSI_IJLi8ELi9ELi10EEEEEEENSI_IJLi5ELi6ELi7ELi8ELi9ELi10EEEElEENS_31BlockToCTileMap_M00_N00_M01_N01ILi128ELi128ES12_Lb0EEELb0ELb0EEEvPKT0_S25_PT1_T2_T3_T4_T5_,comdat
	.protected	_ZN2ck19kernel_gemm_dl_v1r3INS_28GridwiseGemmDl_km_kn_mn_v1r3ILi256EaiaLNS_25InMemoryDataOperationEnumE0ENS_16TensorDescriptorINS_5TupleIJNS_5EmbedINS4_IJiiEEENS4_IJNS_17integral_constantIiLi1EEEiEEELb0EEENS_7UnMergeINS4_IJiNS7_IiLi4EEEEEELb0EEENS_11PassThroughIiEEEEENS4_IJNS_8SequenceIJLi0EEEENSI_IJLi2EEEENSI_IJLi1EEEEEEENS4_IJNSI_IJLi1ELi2EEEENSI_IJLi3ELi4EEEENSI_IJLi5EEEEEEENSI_IJLi3ELi5ELi4EEEElEENS3_INS4_IJNS5_IS6_NS4_IJiS8_EEELb0EEESE_SG_EEENS4_IJSJ_SL_SK_EEESQ_SR_lEENS3_INS4_IJSU_SG_SG_EEESW_NS4_IJSN_NSI_IJLi3EEEENSI_IJLi4EEEEEEESO_lEELi128ELi128ELi16ELi4ELi4ELi4ELi1ENSI_IJLi8ELi2EEEES13_NSI_IJLi2ELi1ELi4ELi4EEEENSI_IJLi8ELi1ELi32ELi1EEEENSI_IJLi0ELi3ELi1ELi2EEEES16_NSI_IJLi1ELi1ELi4ELi1EEEES16_NSI_IJLi1ELi1ELi4ELi4EEEES14_S15_S16_S16_S17_S16_S18_NSI_IJLi0ELi1ELi2ELi3ELi4ELi5EEEELi5ELi4EEEaaNS3_INS4_IJSA_SE_SG_SG_NSB_INS4_IJiNS7_IiLi128EEEEEELb0EEENSF_ISC_EEEEENS4_IJSJ_SK_SL_SZ_SP_S10_EEENS4_IJSN_SO_SP_NSI_IJLi6EEEENSI_IJLi7ELi8EEEENSI_IJLi9EEEEEEENSI_IJLi6ELi7ELi8ELi9EEEElEENS3_INS4_IJSU_SE_SG_SG_S1D_S1E_EEENS4_IJSJ_SL_SK_SZ_SP_S10_EEES1K_S1L_lEENS3_INS4_IJSU_SG_SG_NSB_INS4_IJiNS7_IiLi2EEENS7_IiLi64EEEEEELb0EEES1T_EEENS4_IJSJ_SL_SK_SZ_S10_EEENS4_IJSN_SZ_S10_NSI_IJLi5ELi6ELi7EEEENSI_IJLi8ELi9ELi10EEEEEEENSI_IJLi5ELi6ELi7ELi8ELi9ELi10EEEElEENS_31BlockToCTileMap_M00_N00_M01_N01ILi128ELi128ES12_Lb0EEELb0ELb0EEEvPKT0_S25_PT1_T2_T3_T4_T5_ ; -- Begin function _ZN2ck19kernel_gemm_dl_v1r3INS_28GridwiseGemmDl_km_kn_mn_v1r3ILi256EaiaLNS_25InMemoryDataOperationEnumE0ENS_16TensorDescriptorINS_5TupleIJNS_5EmbedINS4_IJiiEEENS4_IJNS_17integral_constantIiLi1EEEiEEELb0EEENS_7UnMergeINS4_IJiNS7_IiLi4EEEEEELb0EEENS_11PassThroughIiEEEEENS4_IJNS_8SequenceIJLi0EEEENSI_IJLi2EEEENSI_IJLi1EEEEEEENS4_IJNSI_IJLi1ELi2EEEENSI_IJLi3ELi4EEEENSI_IJLi5EEEEEEENSI_IJLi3ELi5ELi4EEEElEENS3_INS4_IJNS5_IS6_NS4_IJiS8_EEELb0EEESE_SG_EEENS4_IJSJ_SL_SK_EEESQ_SR_lEENS3_INS4_IJSU_SG_SG_EEESW_NS4_IJSN_NSI_IJLi3EEEENSI_IJLi4EEEEEEESO_lEELi128ELi128ELi16ELi4ELi4ELi4ELi1ENSI_IJLi8ELi2EEEES13_NSI_IJLi2ELi1ELi4ELi4EEEENSI_IJLi8ELi1ELi32ELi1EEEENSI_IJLi0ELi3ELi1ELi2EEEES16_NSI_IJLi1ELi1ELi4ELi1EEEES16_NSI_IJLi1ELi1ELi4ELi4EEEES14_S15_S16_S16_S17_S16_S18_NSI_IJLi0ELi1ELi2ELi3ELi4ELi5EEEELi5ELi4EEEaaNS3_INS4_IJSA_SE_SG_SG_NSB_INS4_IJiNS7_IiLi128EEEEEELb0EEENSF_ISC_EEEEENS4_IJSJ_SK_SL_SZ_SP_S10_EEENS4_IJSN_SO_SP_NSI_IJLi6EEEENSI_IJLi7ELi8EEEENSI_IJLi9EEEEEEENSI_IJLi6ELi7ELi8ELi9EEEElEENS3_INS4_IJSU_SE_SG_SG_S1D_S1E_EEENS4_IJSJ_SL_SK_SZ_SP_S10_EEES1K_S1L_lEENS3_INS4_IJSU_SG_SG_NSB_INS4_IJiNS7_IiLi2EEENS7_IiLi64EEEEEELb0EEES1T_EEENS4_IJSJ_SL_SK_SZ_S10_EEENS4_IJSN_SZ_S10_NSI_IJLi5ELi6ELi7EEEENSI_IJLi8ELi9ELi10EEEEEEENSI_IJLi5ELi6ELi7ELi8ELi9ELi10EEEElEENS_31BlockToCTileMap_M00_N00_M01_N01ILi128ELi128ES12_Lb0EEELb0ELb0EEEvPKT0_S25_PT1_T2_T3_T4_T5_
	.globl	_ZN2ck19kernel_gemm_dl_v1r3INS_28GridwiseGemmDl_km_kn_mn_v1r3ILi256EaiaLNS_25InMemoryDataOperationEnumE0ENS_16TensorDescriptorINS_5TupleIJNS_5EmbedINS4_IJiiEEENS4_IJNS_17integral_constantIiLi1EEEiEEELb0EEENS_7UnMergeINS4_IJiNS7_IiLi4EEEEEELb0EEENS_11PassThroughIiEEEEENS4_IJNS_8SequenceIJLi0EEEENSI_IJLi2EEEENSI_IJLi1EEEEEEENS4_IJNSI_IJLi1ELi2EEEENSI_IJLi3ELi4EEEENSI_IJLi5EEEEEEENSI_IJLi3ELi5ELi4EEEElEENS3_INS4_IJNS5_IS6_NS4_IJiS8_EEELb0EEESE_SG_EEENS4_IJSJ_SL_SK_EEESQ_SR_lEENS3_INS4_IJSU_SG_SG_EEESW_NS4_IJSN_NSI_IJLi3EEEENSI_IJLi4EEEEEEESO_lEELi128ELi128ELi16ELi4ELi4ELi4ELi1ENSI_IJLi8ELi2EEEES13_NSI_IJLi2ELi1ELi4ELi4EEEENSI_IJLi8ELi1ELi32ELi1EEEENSI_IJLi0ELi3ELi1ELi2EEEES16_NSI_IJLi1ELi1ELi4ELi1EEEES16_NSI_IJLi1ELi1ELi4ELi4EEEES14_S15_S16_S16_S17_S16_S18_NSI_IJLi0ELi1ELi2ELi3ELi4ELi5EEEELi5ELi4EEEaaNS3_INS4_IJSA_SE_SG_SG_NSB_INS4_IJiNS7_IiLi128EEEEEELb0EEENSF_ISC_EEEEENS4_IJSJ_SK_SL_SZ_SP_S10_EEENS4_IJSN_SO_SP_NSI_IJLi6EEEENSI_IJLi7ELi8EEEENSI_IJLi9EEEEEEENSI_IJLi6ELi7ELi8ELi9EEEElEENS3_INS4_IJSU_SE_SG_SG_S1D_S1E_EEENS4_IJSJ_SL_SK_SZ_SP_S10_EEES1K_S1L_lEENS3_INS4_IJSU_SG_SG_NSB_INS4_IJiNS7_IiLi2EEENS7_IiLi64EEEEEELb0EEES1T_EEENS4_IJSJ_SL_SK_SZ_S10_EEENS4_IJSN_SZ_S10_NSI_IJLi5ELi6ELi7EEEENSI_IJLi8ELi9ELi10EEEEEEENSI_IJLi5ELi6ELi7ELi8ELi9ELi10EEEElEENS_31BlockToCTileMap_M00_N00_M01_N01ILi128ELi128ES12_Lb0EEELb0ELb0EEEvPKT0_S25_PT1_T2_T3_T4_T5_
	.p2align	8
	.type	_ZN2ck19kernel_gemm_dl_v1r3INS_28GridwiseGemmDl_km_kn_mn_v1r3ILi256EaiaLNS_25InMemoryDataOperationEnumE0ENS_16TensorDescriptorINS_5TupleIJNS_5EmbedINS4_IJiiEEENS4_IJNS_17integral_constantIiLi1EEEiEEELb0EEENS_7UnMergeINS4_IJiNS7_IiLi4EEEEEELb0EEENS_11PassThroughIiEEEEENS4_IJNS_8SequenceIJLi0EEEENSI_IJLi2EEEENSI_IJLi1EEEEEEENS4_IJNSI_IJLi1ELi2EEEENSI_IJLi3ELi4EEEENSI_IJLi5EEEEEEENSI_IJLi3ELi5ELi4EEEElEENS3_INS4_IJNS5_IS6_NS4_IJiS8_EEELb0EEESE_SG_EEENS4_IJSJ_SL_SK_EEESQ_SR_lEENS3_INS4_IJSU_SG_SG_EEESW_NS4_IJSN_NSI_IJLi3EEEENSI_IJLi4EEEEEEESO_lEELi128ELi128ELi16ELi4ELi4ELi4ELi1ENSI_IJLi8ELi2EEEES13_NSI_IJLi2ELi1ELi4ELi4EEEENSI_IJLi8ELi1ELi32ELi1EEEENSI_IJLi0ELi3ELi1ELi2EEEES16_NSI_IJLi1ELi1ELi4ELi1EEEES16_NSI_IJLi1ELi1ELi4ELi4EEEES14_S15_S16_S16_S17_S16_S18_NSI_IJLi0ELi1ELi2ELi3ELi4ELi5EEEELi5ELi4EEEaaNS3_INS4_IJSA_SE_SG_SG_NSB_INS4_IJiNS7_IiLi128EEEEEELb0EEENSF_ISC_EEEEENS4_IJSJ_SK_SL_SZ_SP_S10_EEENS4_IJSN_SO_SP_NSI_IJLi6EEEENSI_IJLi7ELi8EEEENSI_IJLi9EEEEEEENSI_IJLi6ELi7ELi8ELi9EEEElEENS3_INS4_IJSU_SE_SG_SG_S1D_S1E_EEENS4_IJSJ_SL_SK_SZ_SP_S10_EEES1K_S1L_lEENS3_INS4_IJSU_SG_SG_NSB_INS4_IJiNS7_IiLi2EEENS7_IiLi64EEEEEELb0EEES1T_EEENS4_IJSJ_SL_SK_SZ_S10_EEENS4_IJSN_SZ_S10_NSI_IJLi5ELi6ELi7EEEENSI_IJLi8ELi9ELi10EEEEEEENSI_IJLi5ELi6ELi7ELi8ELi9ELi10EEEElEENS_31BlockToCTileMap_M00_N00_M01_N01ILi128ELi128ES12_Lb0EEELb0ELb0EEEvPKT0_S25_PT1_T2_T3_T4_T5_,@function
_ZN2ck19kernel_gemm_dl_v1r3INS_28GridwiseGemmDl_km_kn_mn_v1r3ILi256EaiaLNS_25InMemoryDataOperationEnumE0ENS_16TensorDescriptorINS_5TupleIJNS_5EmbedINS4_IJiiEEENS4_IJNS_17integral_constantIiLi1EEEiEEELb0EEENS_7UnMergeINS4_IJiNS7_IiLi4EEEEEELb0EEENS_11PassThroughIiEEEEENS4_IJNS_8SequenceIJLi0EEEENSI_IJLi2EEEENSI_IJLi1EEEEEEENS4_IJNSI_IJLi1ELi2EEEENSI_IJLi3ELi4EEEENSI_IJLi5EEEEEEENSI_IJLi3ELi5ELi4EEEElEENS3_INS4_IJNS5_IS6_NS4_IJiS8_EEELb0EEESE_SG_EEENS4_IJSJ_SL_SK_EEESQ_SR_lEENS3_INS4_IJSU_SG_SG_EEESW_NS4_IJSN_NSI_IJLi3EEEENSI_IJLi4EEEEEEESO_lEELi128ELi128ELi16ELi4ELi4ELi4ELi1ENSI_IJLi8ELi2EEEES13_NSI_IJLi2ELi1ELi4ELi4EEEENSI_IJLi8ELi1ELi32ELi1EEEENSI_IJLi0ELi3ELi1ELi2EEEES16_NSI_IJLi1ELi1ELi4ELi1EEEES16_NSI_IJLi1ELi1ELi4ELi4EEEES14_S15_S16_S16_S17_S16_S18_NSI_IJLi0ELi1ELi2ELi3ELi4ELi5EEEELi5ELi4EEEaaNS3_INS4_IJSA_SE_SG_SG_NSB_INS4_IJiNS7_IiLi128EEEEEELb0EEENSF_ISC_EEEEENS4_IJSJ_SK_SL_SZ_SP_S10_EEENS4_IJSN_SO_SP_NSI_IJLi6EEEENSI_IJLi7ELi8EEEENSI_IJLi9EEEEEEENSI_IJLi6ELi7ELi8ELi9EEEElEENS3_INS4_IJSU_SE_SG_SG_S1D_S1E_EEENS4_IJSJ_SL_SK_SZ_SP_S10_EEES1K_S1L_lEENS3_INS4_IJSU_SG_SG_NSB_INS4_IJiNS7_IiLi2EEENS7_IiLi64EEEEEELb0EEES1T_EEENS4_IJSJ_SL_SK_SZ_S10_EEENS4_IJSN_SZ_S10_NSI_IJLi5ELi6ELi7EEEENSI_IJLi8ELi9ELi10EEEEEEENSI_IJLi5ELi6ELi7ELi8ELi9ELi10EEEElEENS_31BlockToCTileMap_M00_N00_M01_N01ILi128ELi128ES12_Lb0EEELb0ELb0EEEvPKT0_S25_PT1_T2_T3_T4_T5_: ; @_ZN2ck19kernel_gemm_dl_v1r3INS_28GridwiseGemmDl_km_kn_mn_v1r3ILi256EaiaLNS_25InMemoryDataOperationEnumE0ENS_16TensorDescriptorINS_5TupleIJNS_5EmbedINS4_IJiiEEENS4_IJNS_17integral_constantIiLi1EEEiEEELb0EEENS_7UnMergeINS4_IJiNS7_IiLi4EEEEEELb0EEENS_11PassThroughIiEEEEENS4_IJNS_8SequenceIJLi0EEEENSI_IJLi2EEEENSI_IJLi1EEEEEEENS4_IJNSI_IJLi1ELi2EEEENSI_IJLi3ELi4EEEENSI_IJLi5EEEEEEENSI_IJLi3ELi5ELi4EEEElEENS3_INS4_IJNS5_IS6_NS4_IJiS8_EEELb0EEESE_SG_EEENS4_IJSJ_SL_SK_EEESQ_SR_lEENS3_INS4_IJSU_SG_SG_EEESW_NS4_IJSN_NSI_IJLi3EEEENSI_IJLi4EEEEEEESO_lEELi128ELi128ELi16ELi4ELi4ELi4ELi1ENSI_IJLi8ELi2EEEES13_NSI_IJLi2ELi1ELi4ELi4EEEENSI_IJLi8ELi1ELi32ELi1EEEENSI_IJLi0ELi3ELi1ELi2EEEES16_NSI_IJLi1ELi1ELi4ELi1EEEES16_NSI_IJLi1ELi1ELi4ELi4EEEES14_S15_S16_S16_S17_S16_S18_NSI_IJLi0ELi1ELi2ELi3ELi4ELi5EEEELi5ELi4EEEaaNS3_INS4_IJSA_SE_SG_SG_NSB_INS4_IJiNS7_IiLi128EEEEEELb0EEENSF_ISC_EEEEENS4_IJSJ_SK_SL_SZ_SP_S10_EEENS4_IJSN_SO_SP_NSI_IJLi6EEEENSI_IJLi7ELi8EEEENSI_IJLi9EEEEEEENSI_IJLi6ELi7ELi8ELi9EEEElEENS3_INS4_IJSU_SE_SG_SG_S1D_S1E_EEENS4_IJSJ_SL_SK_SZ_SP_S10_EEES1K_S1L_lEENS3_INS4_IJSU_SG_SG_NSB_INS4_IJiNS7_IiLi2EEENS7_IiLi64EEEEEELb0EEES1T_EEENS4_IJSJ_SL_SK_SZ_S10_EEENS4_IJSN_SZ_S10_NSI_IJLi5ELi6ELi7EEEENSI_IJLi8ELi9ELi10EEEEEEENSI_IJLi5ELi6ELi7ELi8ELi9ELi10EEEElEENS_31BlockToCTileMap_M00_N00_M01_N01ILi128ELi128ES12_Lb0EEELb0ELb0EEEvPKT0_S25_PT1_T2_T3_T4_T5_
; %bb.0:
	s_clause 0x4
	s_load_b128 s[28:31], s[0:1], 0x11c
	s_load_b128 s[20:23], s[0:1], 0x108
	;; [unrolled: 1-line block ×4, first 2 shown]
	s_load_b64 s[4:5], s[0:1], 0x10
	v_lshrrev_b32_e32 v1, 4, v0
	v_dual_mov_b32 v34, 0 :: v_dual_lshlrev_b32 v3, 1, v0
	s_clause 0x7
	s_load_b32 s14, s[0:1], 0x24
	s_load_b32 s2, s[0:1], 0x50
	;; [unrolled: 1-line block ×8, first 2 shown]
	v_lshlrev_b32_e32 v2, 2, v0
	v_and_b32_e32 v20, 14, v1
	v_and_b32_e32 v1, 0x1f8, v3
	;; [unrolled: 1-line block ×3, first 2 shown]
	v_lshrrev_b32_e32 v0, 5, v0
	s_movk_i32 s32, 0x1c0
	v_mov_b32_e32 v7, v34
	v_mov_b32_e32 v36, v34
	v_sub_nc_u32_e32 v3, v3, v1
	v_mov_b32_e32 v9, v34
	v_mov_b32_e32 v11, v34
	s_waitcnt lgkmcnt(0)
	s_mul_hi_u32 s1, s31, s15
	s_delay_alu instid0(SALU_CYCLE_1) | instskip(SKIP_4) | instid1(VALU_DEP_2)
	s_add_i32 s1, s15, s1
	v_lshl_add_u32 v35, v0, 3, v3
	s_lshr_b32 s1, s1, s27
	v_lshlrev_b32_e32 v5, 6, v0
	s_mul_hi_u32 s7, s1, s30
	v_dual_mov_b32 v3, v34 :: v_dual_mov_b32 v6, v35
	s_add_i32 s7, s1, s7
	v_lshlrev_b32_e32 v4, 2, v20
	s_lshr_b32 s7, s7, s26
	s_mul_i32 s9, s1, s23
	s_mul_hi_u32 s8, s7, s29
	s_mul_i32 s13, s7, s22
	s_add_i32 s8, s7, s8
	s_sub_i32 s1, s1, s13
	s_lshr_b32 s8, s8, s25
	v_sub_nc_u32_e32 v1, v1, v5
	v_mov_b32_e32 v5, v34
	s_mul_hi_u32 s11, s8, s28
	s_mul_i32 s13, s8, s21
	s_add_i32 s11, s8, s11
	v_mul_lo_u32 v22, s14, v4
	v_mul_lo_u32 v4, s33, v4
	s_sub_i32 s7, s7, s13
	s_lshr_b32 s11, s11, s24
	s_sub_i32 s9, s15, s9
	s_mul_i32 s7, s7, s0
	s_mul_i32 s11, s11, s20
	v_and_or_b32 v37, v2, 4, v1
	s_mov_b32 s20, 0
	v_mov_b32_e32 v1, v34
	v_and_b32_e32 v21, 0x7c, v2
	s_add_i32 s9, s9, s7
	s_sub_i32 s8, s8, s11
	s_mov_b32 s21, s20
	s_mov_b32 s22, s20
	s_mov_b32 s23, s20
	s_lshl_b32 s7, s9, 7
	v_dual_mov_b32 v15, v34 :: v_dual_mov_b32 v16, s20
	s_mul_i32 s8, s8, s3
	v_lshlrev_b32_e32 v0, 2, v35
	v_mov_b32_e32 v2, v35
	v_dual_mov_b32 v12, v34 :: v_dual_mov_b32 v17, s21
	v_dual_mov_b32 v18, s22 :: v_dual_mov_b32 v19, s23
	v_add3_u32 v23, v4, v21, s7
	v_mov_b32_e32 v4, v34
	s_add_i32 s13, s1, s8
	v_lshlrev_b32_e32 v8, 2, v37
	v_mov_b32_e32 v10, v37
	s_mov_b64 s[0:1], src_shared_base
	v_dual_mov_b32 v13, v34 :: v_dual_mov_b32 v14, v37
	s_clause 0xe
	scratch_store_b128 off, v[34:37], off offset:64
	scratch_store_b128 off, v[0:3], off offset:80
	;; [unrolled: 1-line block ×15, first 2 shown]
	v_dual_mov_b32 v1, s1 :: v_dual_mov_b32 v0, v34
	s_clause 0x7
	scratch_store_b128 off, v[16:19], off offset:304
	scratch_store_b128 off, v[16:19], off offset:320
	;; [unrolled: 1-line block ×6, first 2 shown]
	scratch_store_b64 off, v[0:1], off offset:400
	scratch_store_b8 off, v34, off offset:409
	v_mov_b32_e32 v0, 0x4000
	s_clause 0x1
	scratch_store_b64 off, v[0:1], off offset:416
	scratch_store_b8 off, v34, off offset:425
	v_add_nc_u32_e32 v1, s33, v23
	s_lshl_b32 s13, s13, 7
	s_mov_b32 s3, 0x31004000
	v_add3_u32 v2, v22, v21, s13
	s_mov_b32 s8, s18
	s_mov_b32 s9, s19
	;; [unrolled: 1-line block ×5, first 2 shown]
	v_add_nc_u32_e32 v5, s33, v1
	s_clause 0x1
	buffer_load_b32 v0, v23, s[8:11], 0 offen
	buffer_load_b32 v3, v1, s[8:11], 0 offen
	;; [unrolled: 1-line block ×3, first 2 shown]
	v_add_nc_u32_e32 v7, s14, v2
	v_add_nc_u32_e32 v9, s33, v5
	buffer_load_b32 v6, v5, s[8:11], 0 offen
	s_lshl_b32 s15, s33, 2
	v_lshlrev_b32_e32 v21, 2, v21
	buffer_load_b32 v8, v7, s[0:3], 0 offen
	v_add_nc_u32_e32 v11, s14, v7
	buffer_load_b32 v10, v9, s[8:11], 0 offen
	v_add_nc_u32_e32 v9, s15, v9
	v_add_nc_u32_e32 v5, s15, v5
	;; [unrolled: 1-line block ×5, first 2 shown]
	buffer_load_b32 v12, v11, s[0:3], 0 offen
	s_clause 0x3
	buffer_load_b32 v9, v9, s[8:11], 0 offen
	buffer_load_b32 v5, v5, s[8:11], 0 offen
	;; [unrolled: 1-line block ×4, first 2 shown]
	s_lshl_b32 s8, s14, 2
	buffer_load_b32 v15, v14, s[0:3], 0 offen
	v_add_nc_u32_e32 v14, s8, v14
	v_add_nc_u32_e32 v11, s8, v11
	;; [unrolled: 1-line block ×4, first 2 shown]
	s_clause 0x3
	buffer_load_b32 v14, v14, s[0:3], 0 offen
	buffer_load_b32 v11, v11, s[0:3], 0 offen
	;; [unrolled: 1-line block ×4, first 2 shown]
	v_lshl_or_b32 v20, v20, 9, v21
	s_mov_b64 s[0:1], src_private_base
	s_getpc_b64 s[8:9]
	s_add_u32 s8, s8, _ZNK2ck6detail15static_for_implINS_8SequenceIJLi1ELi2ELi3ELi4ELi5ELi6ELi7ELi8ELi9ELi10ELi11ELi12ELi13ELi14ELi15EEEEEclIZNKS_80BlockwiseGemmDl_A_BK0_BM_BK1_B_BK0_BN_BK1_C_BM0_BM1_BN0_BN1_pipeline_BM0_2_BN0_2ILi256EaaiKNS_16TensorDescriptorINS_5TupleIJNS_5EmbedINS8_IJNS_17integral_constantIiLi16EEENSA_IiLi128EEENSA_IiLi4EEEEEENS8_IJNSA_IiLi512EEESD_NSA_IiLi1EEEEEELb0EEEEEENS8_IJNS2_IJLi0EEEEEEENS8_IJNS2_IJLi1ELi2ELi3EEEEEEESM_NSA_IlLl8192EEEEESQ_Li4ELi4ELi1ENS2_IJLi8ELi2EEEESR_Li4ELi4ELb0EE3RunINS7_INS8_IJNS_7UnMergeINS8_IJNSA_IiLi2EEESD_SV_SD_EEELb0EEEEEESL_NS8_IJNS2_IJLi1ELi2ELi3ELi4EEEEEEESZ_NSA_IlLl64EEEEENS_13DynamicBufferILNS_16AddressSpaceEnumE2EaSO_Lb1ELNS_22AmdBufferCoherenceEnumE0EiEES16_NS_12StaticBufferILS14_4EiLi64ELb1EEEEEvRKT_RKT0_RKT1_RT2_EUlS19_E_EEvS19_@rel32@lo+4
	s_addc_u32 s9, s9, _ZNK2ck6detail15static_for_implINS_8SequenceIJLi1ELi2ELi3ELi4ELi5ELi6ELi7ELi8ELi9ELi10ELi11ELi12ELi13ELi14ELi15EEEEEclIZNKS_80BlockwiseGemmDl_A_BK0_BM_BK1_B_BK0_BN_BK1_C_BM0_BM1_BN0_BN1_pipeline_BM0_2_BN0_2ILi256EaaiKNS_16TensorDescriptorINS_5TupleIJNS_5EmbedINS8_IJNS_17integral_constantIiLi16EEENSA_IiLi128EEENSA_IiLi4EEEEEENS8_IJNSA_IiLi512EEESD_NSA_IiLi1EEEEEELb0EEEEEENS8_IJNS2_IJLi0EEEEEEENS8_IJNS2_IJLi1ELi2ELi3EEEEEEESM_NSA_IlLl8192EEEEESQ_Li4ELi4ELi1ENS2_IJLi8ELi2EEEESR_Li4ELi4ELb0EE3RunINS7_INS8_IJNS_7UnMergeINS8_IJNSA_IiLi2EEESD_SV_SD_EEELb0EEEEEESL_NS8_IJNS2_IJLi1ELi2ELi3ELi4EEEEEEESZ_NSA_IlLl64EEEEENS_13DynamicBufferILNS_16AddressSpaceEnumE2EaSO_Lb1ELNS_22AmdBufferCoherenceEnumE0EiEES16_NS_12StaticBufferILS14_4EiLi64ELb1EEEEEvRKT_RKT0_RKT1_RT2_EUlS19_E_EEvS19_@rel32@hi+12
	s_waitcnt vmcnt(15)
	v_lshrrev_b32_e32 v22, 16, v0
	v_lshrrev_b16 v21, 8, v0
	v_lshrrev_b32_e32 v23, 24, v0
	v_and_b32_e32 v0, 0xff, v0
	s_waitcnt vmcnt(14)
	v_lshrrev_b32_e32 v24, 16, v3
	v_and_b32_e32 v25, 0xffffff00, v3
	v_lshlrev_b16 v3, 8, v3
	s_waitcnt vmcnt(13)
	v_lshrrev_b32_e32 v27, 16, v4
	v_and_b32_e32 v22, 0xff, v22
	v_and_b32_e32 v29, 0xffffff00, v24
	v_lshlrev_b16 v24, 8, v24
	v_or_b32_e32 v21, v21, v25
	s_waitcnt vmcnt(12)
	v_lshrrev_b16 v25, 8, v6
	v_lshrrev_b32_e32 v30, 16, v6
	v_lshrrev_b32_e32 v31, 24, v6
	v_or_b32_e32 v0, v0, v3
	v_and_b32_e32 v3, 0xff, v6
	v_and_b32_e32 v6, 0xff, v27
	s_waitcnt vmcnt(11)
	v_lshrrev_b32_e32 v27, 16, v8
	v_lshrrev_b16 v26, 8, v4
	v_lshrrev_b32_e32 v28, 24, v4
	v_and_b32_e32 v4, 0xff, v4
	v_and_b32_e32 v32, 0xffffff00, v8
	v_lshlrev_b16 v8, 8, v8
	v_or_b32_e32 v23, v23, v29
	v_or_b32_e32 v22, v22, v24
	v_and_b32_e32 v24, 0xff, v30
	s_waitcnt vmcnt(10)
	v_lshrrev_b32_e32 v29, 16, v10
	v_and_b32_e32 v30, 0xffffff00, v10
	v_lshlrev_b16 v10, 8, v10
	v_and_b32_e32 v33, 0xffffff00, v27
	v_lshlrev_b16 v27, 8, v27
	v_or_b32_e32 v26, v26, v32
	s_waitcnt vmcnt(9)
	v_lshrrev_b16 v32, 8, v12
	v_lshrrev_b32_e32 v34, 16, v12
	v_lshrrev_b32_e32 v36, 24, v12
	v_or_b32_e32 v4, v4, v8
	v_and_b32_e32 v8, 0xff, v12
	v_and_b32_e32 v12, 0xffffff00, v29
	v_lshlrev_b16 v29, 8, v29
	v_or_b32_e32 v25, v25, v30
	s_waitcnt vmcnt(8)
	v_lshrrev_b32_e32 v30, 16, v9
	s_waitcnt vmcnt(7)
	v_lshrrev_b32_e32 v38, 24, v5
	v_lshrrev_b32_e32 v39, 16, v5
	v_and_b32_e32 v40, 0xffffff00, v9
	v_lshrrev_b16 v41, 8, v5
	s_waitcnt vmcnt(6)
	v_lshrrev_b32_e32 v42, 16, v1
	s_waitcnt vmcnt(5)
	v_lshrrev_b32_e32 v43, 24, v13
	v_lshrrev_b32_e32 v44, 16, v13
	v_and_b32_e32 v45, 0xffffff00, v1
	v_lshrrev_b16 v46, 8, v13
	v_or_b32_e32 v3, v3, v10
	v_and_b32_e32 v10, 0xffff, v22
	v_and_b32_e32 v22, 0xffff, v23
	;; [unrolled: 1-line block ×3, first 2 shown]
	v_lshlrev_b16 v1, 8, v1
	v_and_b32_e32 v5, 0xff, v5
	v_lshlrev_b16 v9, 8, v9
	v_or_b32_e32 v23, v28, v33
	s_waitcnt vmcnt(4)
	v_lshrrev_b32_e32 v28, 16, v15
	v_and_b32_e32 v33, 0xffffff00, v15
	v_and_b32_e32 v0, 0xffff, v0
	;; [unrolled: 1-line block ×3, first 2 shown]
	v_or_b32_e32 v6, v6, v27
	v_and_b32_e32 v27, 0xff, v34
	v_and_b32_e32 v34, 0xffff, v4
	v_lshlrev_b16 v4, 8, v15
	v_and_b32_e32 v15, 0xffff, v26
	v_or_b32_e32 v12, v31, v12
	v_or_b32_e32 v24, v24, v29
	v_and_b32_e32 v26, 0xffffff00, v30
	v_lshlrev_b16 v29, 8, v30
	v_and_b32_e32 v30, 0xff, v39
	v_or_b32_e32 v31, v41, v40
	v_and_b32_e32 v39, 0xffffff00, v42
	v_lshlrev_b16 v40, 8, v42
	v_and_b32_e32 v41, 0xff, v44
	v_or_b32_e32 v42, v46, v45
	v_lshlrev_b32_e32 v3, 16, v3
	v_lshlrev_b32_e32 v25, 16, v25
	v_or_b32_e32 v13, v13, v1
	v_or_b32_e32 v5, v5, v9
	v_and_b32_e32 v9, 0xffffff00, v28
	v_lshlrev_b16 v28, 8, v28
	v_or_b32_e32 v32, v32, v33
	s_waitcnt vmcnt(3)
	v_lshrrev_b32_e32 v33, 16, v14
	s_waitcnt vmcnt(2)
	v_lshrrev_b32_e32 v45, 16, v11
	;; [unrolled: 2-line block ×4, first 2 shown]
	v_lshrrev_b32_e32 v44, 24, v11
	v_and_b32_e32 v46, 0xffffff00, v14
	v_lshrrev_b16 v47, 8, v11
	v_lshrrev_b32_e32 v49, 24, v2
	v_and_b32_e32 v51, 0xffffff00, v7
	v_lshrrev_b16 v52, 8, v2
	v_or_b32_e32 v4, v8, v4
	v_and_b32_e32 v53, 0xffff, v6
	v_and_b32_e32 v2, 0xff, v2
	v_lshlrev_b16 v6, 8, v7
	v_and_b32_e32 v7, 0xff, v11
	v_lshlrev_b16 v8, 8, v14
	v_or_b32_e32 v11, v38, v26
	v_or_b32_e32 v14, v30, v29
	;; [unrolled: 1-line block ×5, first 2 shown]
	v_lshlrev_b32_e32 v3, 16, v24
	v_lshlrev_b32_e32 v12, 16, v12
	v_and_b32_e32 v13, 0xffff, v13
	v_lshlrev_b32_e32 v5, 16, v5
	v_and_b32_e32 v21, 0xffff, v42
	v_lshlrev_b32_e32 v24, 16, v31
	v_or_b32_e32 v25, v36, v9
	v_or_b32_e32 v27, v27, v28
	v_and_b32_e32 v9, 0xffffff00, v33
	v_lshlrev_b16 v28, 8, v33
	v_and_b32_e32 v30, 0xff, v45
	v_and_b32_e32 v33, 0xffffff00, v48
	v_lshlrev_b16 v36, 8, v48
	v_and_b32_e32 v38, 0xff, v50
	v_lshlrev_b32_e32 v32, 16, v32
	v_or_b32_e32 v26, v43, v39
	v_or_b32_e32 v31, v47, v46
	;; [unrolled: 1-line block ×3, first 2 shown]
	v_lshlrev_b32_e32 v40, 16, v4
	v_or_b32_e32 v6, v2, v6
	v_or_b32_e32 v7, v7, v8
	v_or_b32_e32 v2, v10, v3
	v_or_b32_e32 v3, v22, v12
	v_or_b32_e32 v4, v13, v5
	v_or_b32_e32 v5, v21, v24
	v_and_b32_e32 v10, 0xffff, v29
	v_lshlrev_b32_e32 v12, 16, v14
	v_or_b32_e32 v14, v44, v9
	v_or_b32_e32 v21, v30, v28
	;; [unrolled: 1-line block ×5, first 2 shown]
	v_lshlrev_b32_e32 v15, 16, v27
	v_and_b32_e32 v13, 0xffff, v26
	v_lshlrev_b32_e32 v11, 16, v11
	v_and_b32_e32 v23, 0xffff, v23
	v_lshlrev_b32_e32 v25, 16, v25
	v_and_b32_e32 v26, 0xffff, v6
	v_lshlrev_b32_e32 v27, 16, v7
	v_and_b32_e32 v28, 0xffff, v39
	v_lshlrev_b32_e32 v29, 16, v31
	v_or_b32_e32 v6, v10, v12
	v_or_b32_e32 v10, v53, v15
	v_and_b32_e32 v15, 0xffff, v24
	v_lshlrev_b32_e32 v21, 16, v21
	v_and_b32_e32 v22, 0xffff, v22
	v_lshlrev_b32_e32 v24, 16, v14
	v_or_b32_e32 v7, v13, v11
	v_or_b32_e32 v8, v34, v40
	v_or_b32_e32 v11, v23, v25
	v_or_b32_e32 v12, v26, v27
	v_or_b32_e32 v13, v28, v29
	v_or_b32_e32 v14, v15, v21
	v_or_b32_e32 v15, v22, v24
	ds_store_b128 v20, v[0:3] offset:16384
	ds_store_b128 v20, v[4:7] offset:16896
	ds_store_b128 v20, v[8:11]
	ds_store_b128 v20, v[12:15] offset:512
	s_waitcnt lgkmcnt(0)
	s_waitcnt_vscnt null, 0x0
	s_barrier
	buffer_gl0_inv
	s_clause 0x3
	scratch_load_b32 v2, off, off offset:80
	scratch_load_b64 v[0:1], off, off offset:400
	scratch_load_b32 v6, off, off offset:112
	scratch_load_b64 v[4:5], off, off offset:416
	s_clause 0x3
	scratch_store_b128 off, v[16:19], off
	scratch_store_b128 off, v[16:19], off offset:16
	scratch_store_b128 off, v[16:19], off offset:32
	;; [unrolled: 1-line block ×3, first 2 shown]
	s_waitcnt vmcnt(3)
	v_ashrrev_i32_e32 v3, 31, v2
	s_waitcnt vmcnt(2)
	v_add_co_u32 v32, vcc_lo, v0, v2
	s_waitcnt vmcnt(1)
	v_ashrrev_i32_e32 v7, 31, v6
	v_add_co_ci_u32_e32 v33, vcc_lo, v1, v3, vcc_lo
	s_waitcnt vmcnt(0)
	v_add_co_u32 v8, vcc_lo, v4, v6
	s_delay_alu instid0(VALU_DEP_3)
	v_add_co_ci_u32_e32 v9, vcc_lo, v5, v7, vcc_lo
	flat_load_b128 v[0:3], v[32:33]
	s_waitcnt vmcnt(0) lgkmcnt(0)
	scratch_store_b128 off, v[0:3], off
	flat_load_b128 v[4:7], v[8:9]
	s_waitcnt vmcnt(0) lgkmcnt(0)
	scratch_store_b128 off, v[4:7], off offset:32
	flat_load_b128 v[8:11], v[8:9] offset:256
	s_clause 0x7
	scratch_load_b128 v[12:15], off, off offset:144
	scratch_load_b128 v[16:19], off, off offset:176
	;; [unrolled: 1-line block ×8, first 2 shown]
	s_waitcnt vmcnt(8) lgkmcnt(0)
	scratch_store_b128 off, v[8:11], off offset:48
	flat_load_b128 v[50:53], v[32:33] offset:256
	s_waitcnt vmcnt(8)
	v_dot4_i32_iu8 v12, v0, v4, v12 neg_lo:[1,1,0]
	v_dot4_i32_iu8 v13, v0, v5, v13 neg_lo:[1,1,0]
	v_dot4_i32_iu8 v14, v0, v6, v14 neg_lo:[1,1,0]
	v_dot4_i32_iu8 v15, v0, v7, v15 neg_lo:[1,1,0]
	s_waitcnt vmcnt(7)
	v_dot4_i32_iu8 v16, v1, v4, v16 neg_lo:[1,1,0]
	v_dot4_i32_iu8 v17, v1, v5, v17 neg_lo:[1,1,0]
	v_dot4_i32_iu8 v18, v1, v6, v18 neg_lo:[1,1,0]
	v_dot4_i32_iu8 v19, v1, v7, v19 neg_lo:[1,1,0]
	;; [unrolled: 5-line block ×8, first 2 shown]
	v_dual_mov_b32 v11, s1 :: v_dual_mov_b32 v8, 0x90
	v_dual_mov_b32 v10, 0x1a0 :: v_dual_mov_b32 v9, s1
	s_clause 0x7
	scratch_store_b128 off, v[12:15], off offset:144
	scratch_store_b128 off, v[24:27], off offset:160
	;; [unrolled: 1-line block ×8, first 2 shown]
	s_waitcnt vmcnt(0) lgkmcnt(0)
	scratch_store_b128 off, v[50:53], off offset:16
	v_mov_b32_e32 v0, 64
	v_mov_b32_e32 v2, 0x190
	v_mov_b32_e32 v4, 0
	v_dual_mov_b32 v6, 32 :: v_dual_mov_b32 v1, s1
	v_mov_b32_e32 v3, s1
	v_mov_b32_e32 v5, s1
	;; [unrolled: 1-line block ×3, first 2 shown]
	s_swappc_b64 s[30:31], s[8:9]
	s_clause 0x15
	scratch_load_b32 v32, off, off offset:16
	scratch_load_b32 v33, off, off offset:32
	scratch_load_b128 v[0:3], off, off offset:272
	scratch_load_b128 v[4:7], off, off offset:32
	;; [unrolled: 1-line block ×6, first 2 shown]
	scratch_load_b32 v4, off, off offset:48
	scratch_load_b128 v[24:27], off, off offset:288
	scratch_load_b128 v[28:31], off, off offset:48
	scratch_load_b128 v[38:41], off, off offset:320
	scratch_load_b128 v[42:45], off, off offset:352
	scratch_load_b128 v[46:49], off, off offset:384
	scratch_load_b128 v[50:53], off, off offset:144
	scratch_load_b128 v[54:57], off, off offset:160
	scratch_load_b128 v[58:61], off, off offset:192
	scratch_load_b128 v[62:65], off, off offset:176
	scratch_load_b128 v[66:69], off, off offset:208
	scratch_load_b128 v[70:73], off, off offset:224
	scratch_load_b128 v[74:77], off, off offset:256
	scratch_load_b128 v[78:81], off, off offset:240
	s_waitcnt vmcnt(11)
	v_add_nc_u32_e32 v28, s13, v35
	s_lshl_b32 s0, s12, 6
	s_delay_alu instid0(VALU_DEP_1) | instskip(NEXT) | instid1(VALU_DEP_1)
	v_mul_lo_u32 v28, v28, s12
	v_add3_u32 v28, s7, v37, v28
	s_mov_b32 s7, s3
	v_dot4_i32_iu8 v24, v32, v4, v24 neg_lo:[1,1,0]
	v_dot4_i32_iu8 v25, v32, v29, v25 neg_lo:[1,1,0]
	v_dot4_i32_iu8 v0, v32, v33, v0 neg_lo:[1,1,0]
	v_dot4_i32_iu8 v1, v32, v5, v1 neg_lo:[1,1,0]
	s_waitcnt vmcnt(8)
	v_dot4_i32_iu8 v46, v11, v4, v46 neg_lo:[1,1,0]
	v_dot4_i32_iu8 v47, v11, v29, v47 neg_lo:[1,1,0]
	;; [unrolled: 1-line block ×23, first 2 shown]
	s_clause 0x1
	scratch_store_b128 off, v[20:23], off offset:368
	scratch_store_b128 off, v[46:49], off offset:384
	v_dot4_i32_iu8 v39, v9, v29, v39 neg_lo:[1,1,0]
	v_dot4_i32_iu8 v40, v9, v30, v40 neg_lo:[1,1,0]
	;; [unrolled: 1-line block ×5, first 2 shown]
	s_clause 0x1
	scratch_load_b128 v[20:23], off, off offset:368
	scratch_load_b128 v[46:49], off, off offset:384
	s_clause 0x1
	scratch_store_b128 off, v[16:19], off offset:336
	scratch_store_b128 off, v[42:45], off offset:352
	s_clause 0x1
	scratch_load_b128 v[16:19], off, off offset:352
	scratch_load_b128 v[8:11], off, off offset:336
	s_clause 0x1
	scratch_store_b128 off, v[12:15], off offset:304
	scratch_store_b128 off, v[38:41], off offset:320
	;; [unrolled: 6-line block ×3, first 2 shown]
	s_clause 0x1
	scratch_load_b128 v[24:27], off, off offset:288
	scratch_load_b128 v[0:3], off, off offset:272
	v_add_nc_u32_e32 v29, s12, v28
	s_waitcnt vmcnt(15)
	v_lshlrev_b32_e32 v40, 8, v51
	v_lshlrev_b32_e32 v41, 16, v52
	s_waitcnt vmcnt(14)
	v_lshlrev_b32_e32 v43, 8, v55
	v_lshlrev_b32_e32 v44, 16, v56
	v_add_nc_u32_e32 v30, s12, v29
	s_waitcnt vmcnt(13)
	v_lshlrev_b32_e32 v51, 8, v59
	v_lshlrev_b32_e32 v52, 16, v60
	s_waitcnt vmcnt(12)
	v_lshlrev_b32_e32 v55, 8, v63
	v_lshlrev_b32_e32 v56, 16, v64
	v_add_nc_u32_e32 v31, 64, v30
	s_waitcnt vmcnt(11)
	v_lshlrev_b32_e32 v59, 8, v67
	v_lshlrev_b32_e32 v60, 16, v68
	;; [unrolled: 1-line block ×3, first 2 shown]
	s_waitcnt vmcnt(10)
	v_lshlrev_b32_e32 v63, 8, v71
	v_lshlrev_b32_e32 v64, 16, v72
	s_waitcnt vmcnt(9)
	v_lshlrev_b32_e32 v67, 8, v75
	v_lshlrev_b32_e32 v68, 16, v76
	s_waitcnt vmcnt(8)
	v_lshlrev_b32_e32 v71, 8, v79
	v_lshlrev_b32_e32 v72, 16, v80
	v_perm_b32 v40, v40, v50, 0xc0c0500
	v_and_b32_e32 v41, 0xff0000, v41
	v_lshlrev_b32_e32 v45, 24, v57
	v_perm_b32 v43, v43, v54, 0xc0c0500
	v_and_b32_e32 v44, 0xff0000, v44
	v_lshlrev_b32_e32 v53, 24, v61
	;; [unrolled: 3-line block ×3, first 2 shown]
	v_perm_b32 v52, v55, v62, 0xc0c0500
	v_and_b32_e32 v54, 0xff0000, v56
	v_add_nc_u32_e32 v32, s0, v31
	v_lshlrev_b32_e32 v61, 24, v69
	v_perm_b32 v55, v59, v66, 0xc0c0500
	v_and_b32_e32 v56, 0xff0000, v60
	v_lshlrev_b32_e32 v65, 24, v73
	v_lshlrev_b32_e32 v69, 24, v77
	;; [unrolled: 1-line block ×3, first 2 shown]
	v_perm_b32 v58, v63, v70, 0xc0c0500
	v_and_b32_e32 v59, 0xff0000, v64
	v_perm_b32 v60, v67, v74, 0xc0c0500
	v_and_b32_e32 v62, 0xff0000, v68
	;; [unrolled: 2-line block ×3, first 2 shown]
	v_or3_b32 v40, v40, v41, v42
	v_or3_b32 v41, v43, v44, v45
	v_add_nc_u32_e32 v37, 64, v29
	v_or3_b32 v42, v50, v51, v53
	v_or3_b32 v43, v52, v54, v57
	v_subrev_nc_u32_e32 v33, 64, v32
	v_or3_b32 v44, v55, v56, v61
	v_add_nc_u32_e32 v35, s12, v30
	v_add_nc_u32_e32 v31, s12, v31
	v_or3_b32 v45, v58, v59, v65
	v_or3_b32 v50, v60, v62, v69
	;; [unrolled: 1-line block ×3, first 2 shown]
	s_clause 0x7
	buffer_store_b32 v40, v28, s[4:7], 0 offen
	buffer_store_b32 v41, v28, s[4:7], 0 offen offset:64
	buffer_store_b32 v42, v37, s[4:7], 0 offen
	buffer_store_b32 v43, v29, s[4:7], 0 offen
	;; [unrolled: 1-line block ×3, first 2 shown]
	buffer_store_b32 v45, v30, s[4:7], 0 offen offset:64
	buffer_store_b32 v50, v31, s[4:7], 0 offen
	buffer_store_b32 v51, v35, s[4:7], 0 offen
	v_subrev_nc_u32_e32 v34, s12, v33
	v_add_nc_u32_e32 v38, s0, v35
	s_delay_alu instid0(VALU_DEP_2) | instskip(NEXT) | instid1(VALU_DEP_1)
	v_subrev_nc_u32_e32 v36, s12, v34
	v_add_nc_u32_e32 v39, 64, v36
	s_waitcnt vmcnt(7)
	v_lshlrev_b32_e32 v21, 8, v21
	v_lshlrev_b32_e32 v22, 16, v22
	s_waitcnt vmcnt(6)
	v_lshlrev_b32_e32 v28, 8, v47
	v_lshlrev_b32_e32 v29, 16, v48
	;; [unrolled: 3-line block ×5, first 2 shown]
	v_lshlrev_b32_e32 v23, 24, v23
	s_waitcnt vmcnt(2)
	v_lshlrev_b32_e32 v5, 8, v5
	v_lshlrev_b32_e32 v6, 16, v6
	s_waitcnt vmcnt(1)
	v_lshlrev_b32_e32 v25, 8, v25
	;; [unrolled: 3-line block ×3, first 2 shown]
	v_lshlrev_b32_e32 v2, 16, v2
	v_perm_b32 v20, v21, v20, 0xc0c0500
	v_and_b32_e32 v21, 0xff0000, v22
	v_lshlrev_b32_e32 v30, 24, v49
	v_perm_b32 v22, v28, v46, 0xc0c0500
	v_and_b32_e32 v28, 0xff0000, v29
	;; [unrolled: 3-line block ×5, first 2 shown]
	v_lshlrev_b32_e32 v7, 24, v7
	v_lshlrev_b32_e32 v27, 24, v27
	;; [unrolled: 1-line block ×3, first 2 shown]
	v_perm_b32 v4, v5, v4, 0xc0c0500
	v_and_b32_e32 v5, 0xff0000, v6
	v_perm_b32 v6, v25, v24, 0xc0c0500
	v_and_b32_e32 v13, 0xff0000, v26
	;; [unrolled: 2-line block ×3, first 2 shown]
	v_or3_b32 v2, v20, v21, v23
	v_or3_b32 v14, v22, v28, v30
	;; [unrolled: 1-line block ×8, first 2 shown]
	s_clause 0x7
	buffer_store_b32 v2, v38, s[4:7], 0 offen
	buffer_store_b32 v14, v38, s[4:7], 0 offen offset:64
	buffer_store_b32 v16, v32, s[4:7], 0 offen
	buffer_store_b32 v8, v33, s[4:7], 0 offen
	;; [unrolled: 1-line block ×3, first 2 shown]
	buffer_store_b32 v4, v34, s[4:7], 0 offen offset:64
	buffer_store_b32 v5, v39, s[4:7], 0 offen
	buffer_store_b32 v0, v36, s[4:7], 0 offen
	s_endpgm
	.section	.rodata,"a",@progbits
	.p2align	6, 0x0
	.amdhsa_kernel _ZN2ck19kernel_gemm_dl_v1r3INS_28GridwiseGemmDl_km_kn_mn_v1r3ILi256EaiaLNS_25InMemoryDataOperationEnumE0ENS_16TensorDescriptorINS_5TupleIJNS_5EmbedINS4_IJiiEEENS4_IJNS_17integral_constantIiLi1EEEiEEELb0EEENS_7UnMergeINS4_IJiNS7_IiLi4EEEEEELb0EEENS_11PassThroughIiEEEEENS4_IJNS_8SequenceIJLi0EEEENSI_IJLi2EEEENSI_IJLi1EEEEEEENS4_IJNSI_IJLi1ELi2EEEENSI_IJLi3ELi4EEEENSI_IJLi5EEEEEEENSI_IJLi3ELi5ELi4EEEElEENS3_INS4_IJNS5_IS6_NS4_IJiS8_EEELb0EEESE_SG_EEENS4_IJSJ_SL_SK_EEESQ_SR_lEENS3_INS4_IJSU_SG_SG_EEESW_NS4_IJSN_NSI_IJLi3EEEENSI_IJLi4EEEEEEESO_lEELi128ELi128ELi16ELi4ELi4ELi4ELi1ENSI_IJLi8ELi2EEEES13_NSI_IJLi2ELi1ELi4ELi4EEEENSI_IJLi8ELi1ELi32ELi1EEEENSI_IJLi0ELi3ELi1ELi2EEEES16_NSI_IJLi1ELi1ELi4ELi1EEEES16_NSI_IJLi1ELi1ELi4ELi4EEEES14_S15_S16_S16_S17_S16_S18_NSI_IJLi0ELi1ELi2ELi3ELi4ELi5EEEELi5ELi4EEEaaNS3_INS4_IJSA_SE_SG_SG_NSB_INS4_IJiNS7_IiLi128EEEEEELb0EEENSF_ISC_EEEEENS4_IJSJ_SK_SL_SZ_SP_S10_EEENS4_IJSN_SO_SP_NSI_IJLi6EEEENSI_IJLi7ELi8EEEENSI_IJLi9EEEEEEENSI_IJLi6ELi7ELi8ELi9EEEElEENS3_INS4_IJSU_SE_SG_SG_S1D_S1E_EEENS4_IJSJ_SL_SK_SZ_SP_S10_EEES1K_S1L_lEENS3_INS4_IJSU_SG_SG_NSB_INS4_IJiNS7_IiLi2EEENS7_IiLi64EEEEEELb0EEES1T_EEENS4_IJSJ_SL_SK_SZ_S10_EEENS4_IJSN_SZ_S10_NSI_IJLi5ELi6ELi7EEEENSI_IJLi8ELi9ELi10EEEEEEENSI_IJLi5ELi6ELi7ELi8ELi9ELi10EEEElEENS_31BlockToCTileMap_M00_N00_M01_N01ILi128ELi128ES12_Lb0EEELb0ELb0EEEvPKT0_S25_PT1_T2_T3_T4_T5_
		.amdhsa_group_segment_fixed_size 32768
		.amdhsa_private_segment_fixed_size 448
		.amdhsa_kernarg_size 328
		.amdhsa_user_sgpr_count 15
		.amdhsa_user_sgpr_dispatch_ptr 0
		.amdhsa_user_sgpr_queue_ptr 0
		.amdhsa_user_sgpr_kernarg_segment_ptr 1
		.amdhsa_user_sgpr_dispatch_id 0
		.amdhsa_user_sgpr_private_segment_size 0
		.amdhsa_wavefront_size32 1
		.amdhsa_uses_dynamic_stack 0
		.amdhsa_enable_private_segment 1
		.amdhsa_system_sgpr_workgroup_id_x 1
		.amdhsa_system_sgpr_workgroup_id_y 0
		.amdhsa_system_sgpr_workgroup_id_z 0
		.amdhsa_system_sgpr_workgroup_info 0
		.amdhsa_system_vgpr_workitem_id 0
		.amdhsa_next_free_vgpr 82
		.amdhsa_next_free_sgpr 34
		.amdhsa_reserve_vcc 1
		.amdhsa_float_round_mode_32 0
		.amdhsa_float_round_mode_16_64 0
		.amdhsa_float_denorm_mode_32 3
		.amdhsa_float_denorm_mode_16_64 3
		.amdhsa_dx10_clamp 1
		.amdhsa_ieee_mode 1
		.amdhsa_fp16_overflow 0
		.amdhsa_workgroup_processor_mode 1
		.amdhsa_memory_ordered 1
		.amdhsa_forward_progress 0
		.amdhsa_shared_vgpr_count 0
		.amdhsa_exception_fp_ieee_invalid_op 0
		.amdhsa_exception_fp_denorm_src 0
		.amdhsa_exception_fp_ieee_div_zero 0
		.amdhsa_exception_fp_ieee_overflow 0
		.amdhsa_exception_fp_ieee_underflow 0
		.amdhsa_exception_fp_ieee_inexact 0
		.amdhsa_exception_int_div_zero 0
	.end_amdhsa_kernel
	.section	.text._ZN2ck19kernel_gemm_dl_v1r3INS_28GridwiseGemmDl_km_kn_mn_v1r3ILi256EaiaLNS_25InMemoryDataOperationEnumE0ENS_16TensorDescriptorINS_5TupleIJNS_5EmbedINS4_IJiiEEENS4_IJNS_17integral_constantIiLi1EEEiEEELb0EEENS_7UnMergeINS4_IJiNS7_IiLi4EEEEEELb0EEENS_11PassThroughIiEEEEENS4_IJNS_8SequenceIJLi0EEEENSI_IJLi2EEEENSI_IJLi1EEEEEEENS4_IJNSI_IJLi1ELi2EEEENSI_IJLi3ELi4EEEENSI_IJLi5EEEEEEENSI_IJLi3ELi5ELi4EEEElEENS3_INS4_IJNS5_IS6_NS4_IJiS8_EEELb0EEESE_SG_EEENS4_IJSJ_SL_SK_EEESQ_SR_lEENS3_INS4_IJSU_SG_SG_EEESW_NS4_IJSN_NSI_IJLi3EEEENSI_IJLi4EEEEEEESO_lEELi128ELi128ELi16ELi4ELi4ELi4ELi1ENSI_IJLi8ELi2EEEES13_NSI_IJLi2ELi1ELi4ELi4EEEENSI_IJLi8ELi1ELi32ELi1EEEENSI_IJLi0ELi3ELi1ELi2EEEES16_NSI_IJLi1ELi1ELi4ELi1EEEES16_NSI_IJLi1ELi1ELi4ELi4EEEES14_S15_S16_S16_S17_S16_S18_NSI_IJLi0ELi1ELi2ELi3ELi4ELi5EEEELi5ELi4EEEaaNS3_INS4_IJSA_SE_SG_SG_NSB_INS4_IJiNS7_IiLi128EEEEEELb0EEENSF_ISC_EEEEENS4_IJSJ_SK_SL_SZ_SP_S10_EEENS4_IJSN_SO_SP_NSI_IJLi6EEEENSI_IJLi7ELi8EEEENSI_IJLi9EEEEEEENSI_IJLi6ELi7ELi8ELi9EEEElEENS3_INS4_IJSU_SE_SG_SG_S1D_S1E_EEENS4_IJSJ_SL_SK_SZ_SP_S10_EEES1K_S1L_lEENS3_INS4_IJSU_SG_SG_NSB_INS4_IJiNS7_IiLi2EEENS7_IiLi64EEEEEELb0EEES1T_EEENS4_IJSJ_SL_SK_SZ_S10_EEENS4_IJSN_SZ_S10_NSI_IJLi5ELi6ELi7EEEENSI_IJLi8ELi9ELi10EEEEEEENSI_IJLi5ELi6ELi7ELi8ELi9ELi10EEEElEENS_31BlockToCTileMap_M00_N00_M01_N01ILi128ELi128ES12_Lb0EEELb0ELb0EEEvPKT0_S25_PT1_T2_T3_T4_T5_,"axG",@progbits,_ZN2ck19kernel_gemm_dl_v1r3INS_28GridwiseGemmDl_km_kn_mn_v1r3ILi256EaiaLNS_25InMemoryDataOperationEnumE0ENS_16TensorDescriptorINS_5TupleIJNS_5EmbedINS4_IJiiEEENS4_IJNS_17integral_constantIiLi1EEEiEEELb0EEENS_7UnMergeINS4_IJiNS7_IiLi4EEEEEELb0EEENS_11PassThroughIiEEEEENS4_IJNS_8SequenceIJLi0EEEENSI_IJLi2EEEENSI_IJLi1EEEEEEENS4_IJNSI_IJLi1ELi2EEEENSI_IJLi3ELi4EEEENSI_IJLi5EEEEEEENSI_IJLi3ELi5ELi4EEEElEENS3_INS4_IJNS5_IS6_NS4_IJiS8_EEELb0EEESE_SG_EEENS4_IJSJ_SL_SK_EEESQ_SR_lEENS3_INS4_IJSU_SG_SG_EEESW_NS4_IJSN_NSI_IJLi3EEEENSI_IJLi4EEEEEEESO_lEELi128ELi128ELi16ELi4ELi4ELi4ELi1ENSI_IJLi8ELi2EEEES13_NSI_IJLi2ELi1ELi4ELi4EEEENSI_IJLi8ELi1ELi32ELi1EEEENSI_IJLi0ELi3ELi1ELi2EEEES16_NSI_IJLi1ELi1ELi4ELi1EEEES16_NSI_IJLi1ELi1ELi4ELi4EEEES14_S15_S16_S16_S17_S16_S18_NSI_IJLi0ELi1ELi2ELi3ELi4ELi5EEEELi5ELi4EEEaaNS3_INS4_IJSA_SE_SG_SG_NSB_INS4_IJiNS7_IiLi128EEEEEELb0EEENSF_ISC_EEEEENS4_IJSJ_SK_SL_SZ_SP_S10_EEENS4_IJSN_SO_SP_NSI_IJLi6EEEENSI_IJLi7ELi8EEEENSI_IJLi9EEEEEEENSI_IJLi6ELi7ELi8ELi9EEEElEENS3_INS4_IJSU_SE_SG_SG_S1D_S1E_EEENS4_IJSJ_SL_SK_SZ_SP_S10_EEES1K_S1L_lEENS3_INS4_IJSU_SG_SG_NSB_INS4_IJiNS7_IiLi2EEENS7_IiLi64EEEEEELb0EEES1T_EEENS4_IJSJ_SL_SK_SZ_S10_EEENS4_IJSN_SZ_S10_NSI_IJLi5ELi6ELi7EEEENSI_IJLi8ELi9ELi10EEEEEEENSI_IJLi5ELi6ELi7ELi8ELi9ELi10EEEElEENS_31BlockToCTileMap_M00_N00_M01_N01ILi128ELi128ES12_Lb0EEELb0ELb0EEEvPKT0_S25_PT1_T2_T3_T4_T5_,comdat
.Lfunc_end5:
	.size	_ZN2ck19kernel_gemm_dl_v1r3INS_28GridwiseGemmDl_km_kn_mn_v1r3ILi256EaiaLNS_25InMemoryDataOperationEnumE0ENS_16TensorDescriptorINS_5TupleIJNS_5EmbedINS4_IJiiEEENS4_IJNS_17integral_constantIiLi1EEEiEEELb0EEENS_7UnMergeINS4_IJiNS7_IiLi4EEEEEELb0EEENS_11PassThroughIiEEEEENS4_IJNS_8SequenceIJLi0EEEENSI_IJLi2EEEENSI_IJLi1EEEEEEENS4_IJNSI_IJLi1ELi2EEEENSI_IJLi3ELi4EEEENSI_IJLi5EEEEEEENSI_IJLi3ELi5ELi4EEEElEENS3_INS4_IJNS5_IS6_NS4_IJiS8_EEELb0EEESE_SG_EEENS4_IJSJ_SL_SK_EEESQ_SR_lEENS3_INS4_IJSU_SG_SG_EEESW_NS4_IJSN_NSI_IJLi3EEEENSI_IJLi4EEEEEEESO_lEELi128ELi128ELi16ELi4ELi4ELi4ELi1ENSI_IJLi8ELi2EEEES13_NSI_IJLi2ELi1ELi4ELi4EEEENSI_IJLi8ELi1ELi32ELi1EEEENSI_IJLi0ELi3ELi1ELi2EEEES16_NSI_IJLi1ELi1ELi4ELi1EEEES16_NSI_IJLi1ELi1ELi4ELi4EEEES14_S15_S16_S16_S17_S16_S18_NSI_IJLi0ELi1ELi2ELi3ELi4ELi5EEEELi5ELi4EEEaaNS3_INS4_IJSA_SE_SG_SG_NSB_INS4_IJiNS7_IiLi128EEEEEELb0EEENSF_ISC_EEEEENS4_IJSJ_SK_SL_SZ_SP_S10_EEENS4_IJSN_SO_SP_NSI_IJLi6EEEENSI_IJLi7ELi8EEEENSI_IJLi9EEEEEEENSI_IJLi6ELi7ELi8ELi9EEEElEENS3_INS4_IJSU_SE_SG_SG_S1D_S1E_EEENS4_IJSJ_SL_SK_SZ_SP_S10_EEES1K_S1L_lEENS3_INS4_IJSU_SG_SG_NSB_INS4_IJiNS7_IiLi2EEENS7_IiLi64EEEEEELb0EEES1T_EEENS4_IJSJ_SL_SK_SZ_S10_EEENS4_IJSN_SZ_S10_NSI_IJLi5ELi6ELi7EEEENSI_IJLi8ELi9ELi10EEEEEEENSI_IJLi5ELi6ELi7ELi8ELi9ELi10EEEElEENS_31BlockToCTileMap_M00_N00_M01_N01ILi128ELi128ES12_Lb0EEELb0ELb0EEEvPKT0_S25_PT1_T2_T3_T4_T5_, .Lfunc_end5-_ZN2ck19kernel_gemm_dl_v1r3INS_28GridwiseGemmDl_km_kn_mn_v1r3ILi256EaiaLNS_25InMemoryDataOperationEnumE0ENS_16TensorDescriptorINS_5TupleIJNS_5EmbedINS4_IJiiEEENS4_IJNS_17integral_constantIiLi1EEEiEEELb0EEENS_7UnMergeINS4_IJiNS7_IiLi4EEEEEELb0EEENS_11PassThroughIiEEEEENS4_IJNS_8SequenceIJLi0EEEENSI_IJLi2EEEENSI_IJLi1EEEEEEENS4_IJNSI_IJLi1ELi2EEEENSI_IJLi3ELi4EEEENSI_IJLi5EEEEEEENSI_IJLi3ELi5ELi4EEEElEENS3_INS4_IJNS5_IS6_NS4_IJiS8_EEELb0EEESE_SG_EEENS4_IJSJ_SL_SK_EEESQ_SR_lEENS3_INS4_IJSU_SG_SG_EEESW_NS4_IJSN_NSI_IJLi3EEEENSI_IJLi4EEEEEEESO_lEELi128ELi128ELi16ELi4ELi4ELi4ELi1ENSI_IJLi8ELi2EEEES13_NSI_IJLi2ELi1ELi4ELi4EEEENSI_IJLi8ELi1ELi32ELi1EEEENSI_IJLi0ELi3ELi1ELi2EEEES16_NSI_IJLi1ELi1ELi4ELi1EEEES16_NSI_IJLi1ELi1ELi4ELi4EEEES14_S15_S16_S16_S17_S16_S18_NSI_IJLi0ELi1ELi2ELi3ELi4ELi5EEEELi5ELi4EEEaaNS3_INS4_IJSA_SE_SG_SG_NSB_INS4_IJiNS7_IiLi128EEEEEELb0EEENSF_ISC_EEEEENS4_IJSJ_SK_SL_SZ_SP_S10_EEENS4_IJSN_SO_SP_NSI_IJLi6EEEENSI_IJLi7ELi8EEEENSI_IJLi9EEEEEEENSI_IJLi6ELi7ELi8ELi9EEEElEENS3_INS4_IJSU_SE_SG_SG_S1D_S1E_EEENS4_IJSJ_SL_SK_SZ_SP_S10_EEES1K_S1L_lEENS3_INS4_IJSU_SG_SG_NSB_INS4_IJiNS7_IiLi2EEENS7_IiLi64EEEEEELb0EEES1T_EEENS4_IJSJ_SL_SK_SZ_S10_EEENS4_IJSN_SZ_S10_NSI_IJLi5ELi6ELi7EEEENSI_IJLi8ELi9ELi10EEEEEEENSI_IJLi5ELi6ELi7ELi8ELi9ELi10EEEElEENS_31BlockToCTileMap_M00_N00_M01_N01ILi128ELi128ES12_Lb0EEELb0ELb0EEEvPKT0_S25_PT1_T2_T3_T4_T5_
                                        ; -- End function
	.section	.AMDGPU.csdata,"",@progbits
; Kernel info:
; codeLenInByte = 4208
; NumSgprs: 36
; NumVgprs: 82
; ScratchSize: 448
; MemoryBound: 0
; FloatMode: 240
; IeeeMode: 1
; LDSByteSize: 32768 bytes/workgroup (compile time only)
; SGPRBlocks: 4
; VGPRBlocks: 10
; NumSGPRsForWavesPerEU: 36
; NumVGPRsForWavesPerEU: 82
; Occupancy: 8
; WaveLimiterHint : 1
; COMPUTE_PGM_RSRC2:SCRATCH_EN: 1
; COMPUTE_PGM_RSRC2:USER_SGPR: 15
; COMPUTE_PGM_RSRC2:TRAP_HANDLER: 0
; COMPUTE_PGM_RSRC2:TGID_X_EN: 1
; COMPUTE_PGM_RSRC2:TGID_Y_EN: 0
; COMPUTE_PGM_RSRC2:TGID_Z_EN: 0
; COMPUTE_PGM_RSRC2:TIDIG_COMP_CNT: 0
	.section	.text._ZN2ck17naive_gemm_kernelINS_13tensor_layout4gemm11ColumnMajorENS2_8RowMajorES4_aaaiNS_16tensor_operation12element_wise11PassThroughES7_S7_aaEEvPKT2_PKT3_PT4_iiiT6_T7_T8_,"axG",@progbits,_ZN2ck17naive_gemm_kernelINS_13tensor_layout4gemm11ColumnMajorENS2_8RowMajorES4_aaaiNS_16tensor_operation12element_wise11PassThroughES7_S7_aaEEvPKT2_PKT3_PT4_iiiT6_T7_T8_,comdat
	.protected	_ZN2ck17naive_gemm_kernelINS_13tensor_layout4gemm11ColumnMajorENS2_8RowMajorES4_aaaiNS_16tensor_operation12element_wise11PassThroughES7_S7_aaEEvPKT2_PKT3_PT4_iiiT6_T7_T8_ ; -- Begin function _ZN2ck17naive_gemm_kernelINS_13tensor_layout4gemm11ColumnMajorENS2_8RowMajorES4_aaaiNS_16tensor_operation12element_wise11PassThroughES7_S7_aaEEvPKT2_PKT3_PT4_iiiT6_T7_T8_
	.globl	_ZN2ck17naive_gemm_kernelINS_13tensor_layout4gemm11ColumnMajorENS2_8RowMajorES4_aaaiNS_16tensor_operation12element_wise11PassThroughES7_S7_aaEEvPKT2_PKT3_PT4_iiiT6_T7_T8_
	.p2align	8
	.type	_ZN2ck17naive_gemm_kernelINS_13tensor_layout4gemm11ColumnMajorENS2_8RowMajorES4_aaaiNS_16tensor_operation12element_wise11PassThroughES7_S7_aaEEvPKT2_PKT3_PT4_iiiT6_T7_T8_,@function
_ZN2ck17naive_gemm_kernelINS_13tensor_layout4gemm11ColumnMajorENS2_8RowMajorES4_aaaiNS_16tensor_operation12element_wise11PassThroughES7_S7_aaEEvPKT2_PKT3_PT4_iiiT6_T7_T8_: ; @_ZN2ck17naive_gemm_kernelINS_13tensor_layout4gemm11ColumnMajorENS2_8RowMajorES4_aaaiNS_16tensor_operation12element_wise11PassThroughES7_S7_aaEEvPKT2_PKT3_PT4_iiiT6_T7_T8_
; %bb.0:
	s_clause 0x1
	s_load_b32 s2, s[0:1], 0x34
	s_load_b128 s[4:7], s[0:1], 0x18
	v_and_b32_e32 v2, 0x3ff, v0
	v_bfe_u32 v3, v0, 10, 10
	s_waitcnt lgkmcnt(0)
	s_lshr_b32 s3, s2, 16
	s_and_b32 s2, s2, 0xffff
	s_delay_alu instid0(VALU_DEP_1) | instid1(SALU_CYCLE_1)
	v_mad_u64_u32 v[0:1], null, s14, s2, v[2:3]
	v_mad_u64_u32 v[1:2], null, s15, s3, v[3:4]
	s_delay_alu instid0(VALU_DEP_2) | instskip(NEXT) | instid1(VALU_DEP_2)
	v_cmp_gt_i32_e32 vcc_lo, s4, v0
	v_cmp_gt_i32_e64 s2, s5, v1
	s_delay_alu instid0(VALU_DEP_1) | instskip(NEXT) | instid1(SALU_CYCLE_1)
	s_and_b32 s2, vcc_lo, s2
	s_and_saveexec_b32 s3, s2
	s_cbranch_execz .LBB6_6
; %bb.1:
	s_load_b64 s[2:3], s[0:1], 0x10
	s_cmp_lt_i32 s6, 1
	s_cbranch_scc1 .LBB6_4
; %bb.2:
	s_load_b128 s[8:11], s[0:1], 0x0
	v_dual_mov_b32 v2, 0 :: v_dual_mov_b32 v3, v0
	v_mov_b32_e32 v4, v1
	.p2align	6
.LBB6_3:                                ; =>This Inner Loop Header: Depth=1
	s_delay_alu instid0(VALU_DEP_2) | instskip(NEXT) | instid1(VALU_DEP_2)
	v_ashrrev_i32_e32 v6, 31, v3
	v_ashrrev_i32_e32 v9, 31, v4
	s_waitcnt lgkmcnt(0)
	v_add_co_u32 v7, s0, s8, v3
	v_add_co_u32 v5, vcc_lo, s10, v4
	v_add_co_ci_u32_e64 v8, s0, s9, v6, s0
	v_add_co_ci_u32_e32 v6, vcc_lo, s11, v9, vcc_lo
	global_load_u8 v7, v[7:8], off
	global_load_u8 v5, v[5:6], off
	v_add_nc_u32_e32 v4, s5, v4
	v_add_nc_u32_e32 v3, s4, v3
	s_add_i32 s6, s6, -1
	s_delay_alu instid0(SALU_CYCLE_1)
	s_cmp_eq_u32 s6, 0
	s_waitcnt vmcnt(0)
	v_mad_u32_u24 v2, v5, v7, v2
	s_cbranch_scc0 .LBB6_3
	s_branch .LBB6_5
.LBB6_4:
	v_mov_b32_e32 v2, 0
.LBB6_5:
	s_delay_alu instid0(VALU_DEP_1) | instskip(NEXT) | instid1(VALU_DEP_1)
	v_mad_u64_u32 v[3:4], null, v0, s5, v[1:2]
	v_ashrrev_i32_e32 v1, 31, v3
	s_waitcnt lgkmcnt(0)
	v_add_co_u32 v0, vcc_lo, s2, v3
	s_delay_alu instid0(VALU_DEP_2)
	v_add_co_ci_u32_e32 v1, vcc_lo, s3, v1, vcc_lo
	global_store_b8 v[0:1], v2, off
.LBB6_6:
	s_nop 0
	s_sendmsg sendmsg(MSG_DEALLOC_VGPRS)
	s_endpgm
	.section	.rodata,"a",@progbits
	.p2align	6, 0x0
	.amdhsa_kernel _ZN2ck17naive_gemm_kernelINS_13tensor_layout4gemm11ColumnMajorENS2_8RowMajorES4_aaaiNS_16tensor_operation12element_wise11PassThroughES7_S7_aaEEvPKT2_PKT3_PT4_iiiT6_T7_T8_
		.amdhsa_group_segment_fixed_size 0
		.amdhsa_private_segment_fixed_size 0
		.amdhsa_kernarg_size 296
		.amdhsa_user_sgpr_count 14
		.amdhsa_user_sgpr_dispatch_ptr 0
		.amdhsa_user_sgpr_queue_ptr 0
		.amdhsa_user_sgpr_kernarg_segment_ptr 1
		.amdhsa_user_sgpr_dispatch_id 0
		.amdhsa_user_sgpr_private_segment_size 0
		.amdhsa_wavefront_size32 1
		.amdhsa_uses_dynamic_stack 0
		.amdhsa_enable_private_segment 0
		.amdhsa_system_sgpr_workgroup_id_x 1
		.amdhsa_system_sgpr_workgroup_id_y 1
		.amdhsa_system_sgpr_workgroup_id_z 0
		.amdhsa_system_sgpr_workgroup_info 0
		.amdhsa_system_vgpr_workitem_id 1
		.amdhsa_next_free_vgpr 10
		.amdhsa_next_free_sgpr 16
		.amdhsa_reserve_vcc 1
		.amdhsa_float_round_mode_32 0
		.amdhsa_float_round_mode_16_64 0
		.amdhsa_float_denorm_mode_32 3
		.amdhsa_float_denorm_mode_16_64 3
		.amdhsa_dx10_clamp 1
		.amdhsa_ieee_mode 1
		.amdhsa_fp16_overflow 0
		.amdhsa_workgroup_processor_mode 1
		.amdhsa_memory_ordered 1
		.amdhsa_forward_progress 0
		.amdhsa_shared_vgpr_count 0
		.amdhsa_exception_fp_ieee_invalid_op 0
		.amdhsa_exception_fp_denorm_src 0
		.amdhsa_exception_fp_ieee_div_zero 0
		.amdhsa_exception_fp_ieee_overflow 0
		.amdhsa_exception_fp_ieee_underflow 0
		.amdhsa_exception_fp_ieee_inexact 0
		.amdhsa_exception_int_div_zero 0
	.end_amdhsa_kernel
	.section	.text._ZN2ck17naive_gemm_kernelINS_13tensor_layout4gemm11ColumnMajorENS2_8RowMajorES4_aaaiNS_16tensor_operation12element_wise11PassThroughES7_S7_aaEEvPKT2_PKT3_PT4_iiiT6_T7_T8_,"axG",@progbits,_ZN2ck17naive_gemm_kernelINS_13tensor_layout4gemm11ColumnMajorENS2_8RowMajorES4_aaaiNS_16tensor_operation12element_wise11PassThroughES7_S7_aaEEvPKT2_PKT3_PT4_iiiT6_T7_T8_,comdat
.Lfunc_end6:
	.size	_ZN2ck17naive_gemm_kernelINS_13tensor_layout4gemm11ColumnMajorENS2_8RowMajorES4_aaaiNS_16tensor_operation12element_wise11PassThroughES7_S7_aaEEvPKT2_PKT3_PT4_iiiT6_T7_T8_, .Lfunc_end6-_ZN2ck17naive_gemm_kernelINS_13tensor_layout4gemm11ColumnMajorENS2_8RowMajorES4_aaaiNS_16tensor_operation12element_wise11PassThroughES7_S7_aaEEvPKT2_PKT3_PT4_iiiT6_T7_T8_
                                        ; -- End function
	.section	.AMDGPU.csdata,"",@progbits
; Kernel info:
; codeLenInByte = 300
; NumSgprs: 18
; NumVgprs: 10
; ScratchSize: 0
; MemoryBound: 0
; FloatMode: 240
; IeeeMode: 1
; LDSByteSize: 0 bytes/workgroup (compile time only)
; SGPRBlocks: 2
; VGPRBlocks: 1
; NumSGPRsForWavesPerEU: 18
; NumVGPRsForWavesPerEU: 10
; Occupancy: 16
; WaveLimiterHint : 0
; COMPUTE_PGM_RSRC2:SCRATCH_EN: 0
; COMPUTE_PGM_RSRC2:USER_SGPR: 14
; COMPUTE_PGM_RSRC2:TRAP_HANDLER: 0
; COMPUTE_PGM_RSRC2:TGID_X_EN: 1
; COMPUTE_PGM_RSRC2:TGID_Y_EN: 1
; COMPUTE_PGM_RSRC2:TGID_Z_EN: 0
; COMPUTE_PGM_RSRC2:TIDIG_COMP_CNT: 1
	.text
	.p2alignl 7, 3214868480
	.fill 96, 4, 3214868480
	.type	__hip_cuid_330712aa4bde0740,@object ; @__hip_cuid_330712aa4bde0740
	.section	.bss,"aw",@nobits
	.globl	__hip_cuid_330712aa4bde0740
__hip_cuid_330712aa4bde0740:
	.byte	0                               ; 0x0
	.size	__hip_cuid_330712aa4bde0740, 1

	.ident	"AMD clang version 19.0.0git (https://github.com/RadeonOpenCompute/llvm-project roc-6.4.0 25133 c7fe45cf4b819c5991fe208aaa96edf142730f1d)"
	.section	".note.GNU-stack","",@progbits
	.addrsig
	.addrsig_sym __hip_cuid_330712aa4bde0740
	.amdgpu_metadata
---
amdhsa.kernels:
  - .args:           []
    .group_segment_fixed_size: 0
    .kernarg_segment_align: 4
    .kernarg_segment_size: 0
    .language:       OpenCL C
    .language_version:
      - 2
      - 0
    .max_flat_workgroup_size: 1024
    .name:           _ZN2ckL12flush_icacheEv
    .private_segment_fixed_size: 0
    .sgpr_count:     0
    .sgpr_spill_count: 0
    .symbol:         _ZN2ckL12flush_icacheEv.kd
    .uniform_work_group_size: 1
    .uses_dynamic_stack: false
    .vgpr_count:     0
    .vgpr_spill_count: 0
    .wavefront_size: 32
    .workgroup_processor_mode: 1
  - .args:
      - .address_space:  global
        .offset:         0
        .size:           8
        .value_kind:     global_buffer
      - .address_space:  global
        .offset:         8
        .size:           8
        .value_kind:     global_buffer
      - .address_space:  global
        .offset:         16
        .size:           8
        .value_kind:     global_buffer
      - .offset:         24
        .size:           64
        .value_kind:     by_value
      - .offset:         88
        .size:           64
        .value_kind:     by_value
      - .offset:         152
        .size:           64
        .value_kind:     by_value
      - .offset:         216
        .size:           112
        .value_kind:     by_value
    .group_segment_fixed_size: 32768
    .kernarg_segment_align: 8
    .kernarg_segment_size: 328
    .language:       OpenCL C
    .language_version:
      - 2
      - 0
    .max_flat_workgroup_size: 256
    .name:           _ZN2ck19kernel_gemm_dl_v1r3INS_28GridwiseGemmDl_km_kn_mn_v1r3ILi256EaiaLNS_25InMemoryDataOperationEnumE0ENS_16TensorDescriptorINS_5TupleIJNS_5EmbedINS4_IJiiEEENS4_IJNS_17integral_constantIiLi1EEEiEEELb0EEENS_7UnMergeINS4_IJiNS7_IiLi4EEEEEELb0EEENS_11PassThroughIiEEEEENS4_IJNS_8SequenceIJLi0EEEENSI_IJLi2EEEENSI_IJLi1EEEEEEENS4_IJNSI_IJLi1ELi2EEEENSI_IJLi3ELi4EEEENSI_IJLi5EEEEEEENSI_IJLi3ELi5ELi4EEEElEENS3_INS4_IJNS5_IS6_NS4_IJiS8_EEELb0EEESE_SG_EEENS4_IJSJ_SL_SK_EEESQ_SR_lEENS3_INS4_IJSU_SG_SG_EEESW_NS4_IJSN_NSI_IJLi3EEEENSI_IJLi4EEEEEEESO_lEELi128ELi128ELi16ELi4ELi4ELi4ELi1ENSI_IJLi8ELi2EEEES13_NSI_IJLi2ELi1ELi4ELi4EEEENSI_IJLi8ELi1ELi32ELi1EEEENSI_IJLi0ELi3ELi1ELi2EEEES16_NSI_IJLi1ELi1ELi4ELi1EEEES16_NSI_IJLi1ELi1ELi4ELi4EEEES14_S15_S16_S16_S17_S16_S18_NSI_IJLi0ELi1ELi2ELi3ELi4ELi5EEEELi5ELi4EEEaaNS3_INS4_IJSA_SE_SG_SG_NSB_INS4_IJiNS7_IiLi128EEEEEELb0EEENSF_ISC_EEEEENS4_IJSJ_SK_SL_SZ_SP_S10_EEENS4_IJSN_SO_SP_NSI_IJLi6EEEENSI_IJLi7ELi8EEEENSI_IJLi9EEEEEEENSI_IJLi6ELi7ELi8ELi9EEEElEENS3_INS4_IJSU_SE_SG_SG_S1D_S1E_EEENS4_IJSJ_SL_SK_SZ_SP_S10_EEES1K_S1L_lEENS3_INS4_IJSU_SG_SG_NSB_INS4_IJiNS7_IiLi2EEENS7_IiLi64EEEEEELb0EEES1T_EEENS4_IJSJ_SL_SK_SZ_S10_EEENS4_IJSN_SZ_S10_NSI_IJLi5ELi6ELi7EEEENSI_IJLi8ELi9ELi10EEEEEEENSI_IJLi5ELi6ELi7ELi8ELi9ELi10EEEElEENS_31BlockToCTileMap_M00_N00_M01_N01ILi128ELi128ES12_Lb0EEELb1ELb1EEEvPKT0_S25_PT1_T2_T3_T4_T5_
    .private_segment_fixed_size: 480
    .sgpr_count:     45
    .sgpr_spill_count: 0
    .symbol:         _ZN2ck19kernel_gemm_dl_v1r3INS_28GridwiseGemmDl_km_kn_mn_v1r3ILi256EaiaLNS_25InMemoryDataOperationEnumE0ENS_16TensorDescriptorINS_5TupleIJNS_5EmbedINS4_IJiiEEENS4_IJNS_17integral_constantIiLi1EEEiEEELb0EEENS_7UnMergeINS4_IJiNS7_IiLi4EEEEEELb0EEENS_11PassThroughIiEEEEENS4_IJNS_8SequenceIJLi0EEEENSI_IJLi2EEEENSI_IJLi1EEEEEEENS4_IJNSI_IJLi1ELi2EEEENSI_IJLi3ELi4EEEENSI_IJLi5EEEEEEENSI_IJLi3ELi5ELi4EEEElEENS3_INS4_IJNS5_IS6_NS4_IJiS8_EEELb0EEESE_SG_EEENS4_IJSJ_SL_SK_EEESQ_SR_lEENS3_INS4_IJSU_SG_SG_EEESW_NS4_IJSN_NSI_IJLi3EEEENSI_IJLi4EEEEEEESO_lEELi128ELi128ELi16ELi4ELi4ELi4ELi1ENSI_IJLi8ELi2EEEES13_NSI_IJLi2ELi1ELi4ELi4EEEENSI_IJLi8ELi1ELi32ELi1EEEENSI_IJLi0ELi3ELi1ELi2EEEES16_NSI_IJLi1ELi1ELi4ELi1EEEES16_NSI_IJLi1ELi1ELi4ELi4EEEES14_S15_S16_S16_S17_S16_S18_NSI_IJLi0ELi1ELi2ELi3ELi4ELi5EEEELi5ELi4EEEaaNS3_INS4_IJSA_SE_SG_SG_NSB_INS4_IJiNS7_IiLi128EEEEEELb0EEENSF_ISC_EEEEENS4_IJSJ_SK_SL_SZ_SP_S10_EEENS4_IJSN_SO_SP_NSI_IJLi6EEEENSI_IJLi7ELi8EEEENSI_IJLi9EEEEEEENSI_IJLi6ELi7ELi8ELi9EEEElEENS3_INS4_IJSU_SE_SG_SG_S1D_S1E_EEENS4_IJSJ_SL_SK_SZ_SP_S10_EEES1K_S1L_lEENS3_INS4_IJSU_SG_SG_NSB_INS4_IJiNS7_IiLi2EEENS7_IiLi64EEEEEELb0EEES1T_EEENS4_IJSJ_SL_SK_SZ_S10_EEENS4_IJSN_SZ_S10_NSI_IJLi5ELi6ELi7EEEENSI_IJLi8ELi9ELi10EEEEEEENSI_IJLi5ELi6ELi7ELi8ELi9ELi10EEEElEENS_31BlockToCTileMap_M00_N00_M01_N01ILi128ELi128ES12_Lb0EEELb1ELb1EEEvPKT0_S25_PT1_T2_T3_T4_T5_.kd
    .uniform_work_group_size: 1
    .uses_dynamic_stack: false
    .vgpr_count:     153
    .vgpr_spill_count: 0
    .wavefront_size: 32
    .workgroup_processor_mode: 1
  - .args:
      - .address_space:  global
        .offset:         0
        .size:           8
        .value_kind:     global_buffer
      - .address_space:  global
        .offset:         8
        .size:           8
        .value_kind:     global_buffer
      - .address_space:  global
        .offset:         16
        .size:           8
        .value_kind:     global_buffer
      - .offset:         24
        .size:           64
        .value_kind:     by_value
      - .offset:         88
        .size:           64
        .value_kind:     by_value
      - .offset:         152
        .size:           64
        .value_kind:     by_value
      - .offset:         216
        .size:           112
        .value_kind:     by_value
    .group_segment_fixed_size: 32768
    .kernarg_segment_align: 8
    .kernarg_segment_size: 328
    .language:       OpenCL C
    .language_version:
      - 2
      - 0
    .max_flat_workgroup_size: 256
    .name:           _ZN2ck19kernel_gemm_dl_v1r3INS_28GridwiseGemmDl_km_kn_mn_v1r3ILi256EaiaLNS_25InMemoryDataOperationEnumE0ENS_16TensorDescriptorINS_5TupleIJNS_5EmbedINS4_IJiiEEENS4_IJNS_17integral_constantIiLi1EEEiEEELb0EEENS_7UnMergeINS4_IJiNS7_IiLi4EEEEEELb0EEENS_11PassThroughIiEEEEENS4_IJNS_8SequenceIJLi0EEEENSI_IJLi2EEEENSI_IJLi1EEEEEEENS4_IJNSI_IJLi1ELi2EEEENSI_IJLi3ELi4EEEENSI_IJLi5EEEEEEENSI_IJLi3ELi5ELi4EEEElEENS3_INS4_IJNS5_IS6_NS4_IJiS8_EEELb0EEESE_SG_EEENS4_IJSJ_SL_SK_EEESQ_SR_lEENS3_INS4_IJSU_SG_SG_EEESW_NS4_IJSN_NSI_IJLi3EEEENSI_IJLi4EEEEEEESO_lEELi128ELi128ELi16ELi4ELi4ELi4ELi1ENSI_IJLi8ELi2EEEES13_NSI_IJLi2ELi1ELi4ELi4EEEENSI_IJLi8ELi1ELi32ELi1EEEENSI_IJLi0ELi3ELi1ELi2EEEES16_NSI_IJLi1ELi1ELi4ELi1EEEES16_NSI_IJLi1ELi1ELi4ELi4EEEES14_S15_S16_S16_S17_S16_S18_NSI_IJLi0ELi1ELi2ELi3ELi4ELi5EEEELi5ELi4EEEaaNS3_INS4_IJSA_SE_SG_SG_NSB_INS4_IJiNS7_IiLi128EEEEEELb0EEENSF_ISC_EEEEENS4_IJSJ_SK_SL_SZ_SP_S10_EEENS4_IJSN_SO_SP_NSI_IJLi6EEEENSI_IJLi7ELi8EEEENSI_IJLi9EEEEEEENSI_IJLi6ELi7ELi8ELi9EEEElEENS3_INS4_IJSU_SE_SG_SG_S1D_S1E_EEENS4_IJSJ_SL_SK_SZ_SP_S10_EEES1K_S1L_lEENS3_INS4_IJSU_SG_SG_NSB_INS4_IJiNS7_IiLi2EEENS7_IiLi64EEEEEELb0EEES1T_EEENS4_IJSJ_SL_SK_SZ_S10_EEENS4_IJSN_SZ_S10_NSI_IJLi5ELi6ELi7EEEENSI_IJLi8ELi9ELi10EEEEEEENSI_IJLi5ELi6ELi7ELi8ELi9ELi10EEEElEENS_31BlockToCTileMap_M00_N00_M01_N01ILi128ELi128ES12_Lb0EEELb1ELb0EEEvPKT0_S25_PT1_T2_T3_T4_T5_
    .private_segment_fixed_size: 480
    .sgpr_count:     46
    .sgpr_spill_count: 0
    .symbol:         _ZN2ck19kernel_gemm_dl_v1r3INS_28GridwiseGemmDl_km_kn_mn_v1r3ILi256EaiaLNS_25InMemoryDataOperationEnumE0ENS_16TensorDescriptorINS_5TupleIJNS_5EmbedINS4_IJiiEEENS4_IJNS_17integral_constantIiLi1EEEiEEELb0EEENS_7UnMergeINS4_IJiNS7_IiLi4EEEEEELb0EEENS_11PassThroughIiEEEEENS4_IJNS_8SequenceIJLi0EEEENSI_IJLi2EEEENSI_IJLi1EEEEEEENS4_IJNSI_IJLi1ELi2EEEENSI_IJLi3ELi4EEEENSI_IJLi5EEEEEEENSI_IJLi3ELi5ELi4EEEElEENS3_INS4_IJNS5_IS6_NS4_IJiS8_EEELb0EEESE_SG_EEENS4_IJSJ_SL_SK_EEESQ_SR_lEENS3_INS4_IJSU_SG_SG_EEESW_NS4_IJSN_NSI_IJLi3EEEENSI_IJLi4EEEEEEESO_lEELi128ELi128ELi16ELi4ELi4ELi4ELi1ENSI_IJLi8ELi2EEEES13_NSI_IJLi2ELi1ELi4ELi4EEEENSI_IJLi8ELi1ELi32ELi1EEEENSI_IJLi0ELi3ELi1ELi2EEEES16_NSI_IJLi1ELi1ELi4ELi1EEEES16_NSI_IJLi1ELi1ELi4ELi4EEEES14_S15_S16_S16_S17_S16_S18_NSI_IJLi0ELi1ELi2ELi3ELi4ELi5EEEELi5ELi4EEEaaNS3_INS4_IJSA_SE_SG_SG_NSB_INS4_IJiNS7_IiLi128EEEEEELb0EEENSF_ISC_EEEEENS4_IJSJ_SK_SL_SZ_SP_S10_EEENS4_IJSN_SO_SP_NSI_IJLi6EEEENSI_IJLi7ELi8EEEENSI_IJLi9EEEEEEENSI_IJLi6ELi7ELi8ELi9EEEElEENS3_INS4_IJSU_SE_SG_SG_S1D_S1E_EEENS4_IJSJ_SL_SK_SZ_SP_S10_EEES1K_S1L_lEENS3_INS4_IJSU_SG_SG_NSB_INS4_IJiNS7_IiLi2EEENS7_IiLi64EEEEEELb0EEES1T_EEENS4_IJSJ_SL_SK_SZ_S10_EEENS4_IJSN_SZ_S10_NSI_IJLi5ELi6ELi7EEEENSI_IJLi8ELi9ELi10EEEEEEENSI_IJLi5ELi6ELi7ELi8ELi9ELi10EEEElEENS_31BlockToCTileMap_M00_N00_M01_N01ILi128ELi128ES12_Lb0EEELb1ELb0EEEvPKT0_S25_PT1_T2_T3_T4_T5_.kd
    .uniform_work_group_size: 1
    .uses_dynamic_stack: false
    .vgpr_count:     145
    .vgpr_spill_count: 0
    .wavefront_size: 32
    .workgroup_processor_mode: 1
  - .args:
      - .address_space:  global
        .offset:         0
        .size:           8
        .value_kind:     global_buffer
      - .address_space:  global
        .offset:         8
        .size:           8
        .value_kind:     global_buffer
      - .address_space:  global
        .offset:         16
        .size:           8
        .value_kind:     global_buffer
      - .offset:         24
        .size:           64
        .value_kind:     by_value
      - .offset:         88
        .size:           64
        .value_kind:     by_value
      - .offset:         152
        .size:           64
        .value_kind:     by_value
      - .offset:         216
        .size:           112
        .value_kind:     by_value
    .group_segment_fixed_size: 32768
    .kernarg_segment_align: 8
    .kernarg_segment_size: 328
    .language:       OpenCL C
    .language_version:
      - 2
      - 0
    .max_flat_workgroup_size: 256
    .name:           _ZN2ck19kernel_gemm_dl_v1r3INS_28GridwiseGemmDl_km_kn_mn_v1r3ILi256EaiaLNS_25InMemoryDataOperationEnumE0ENS_16TensorDescriptorINS_5TupleIJNS_5EmbedINS4_IJiiEEENS4_IJNS_17integral_constantIiLi1EEEiEEELb0EEENS_7UnMergeINS4_IJiNS7_IiLi4EEEEEELb0EEENS_11PassThroughIiEEEEENS4_IJNS_8SequenceIJLi0EEEENSI_IJLi2EEEENSI_IJLi1EEEEEEENS4_IJNSI_IJLi1ELi2EEEENSI_IJLi3ELi4EEEENSI_IJLi5EEEEEEENSI_IJLi3ELi5ELi4EEEElEENS3_INS4_IJNS5_IS6_NS4_IJiS8_EEELb0EEESE_SG_EEENS4_IJSJ_SL_SK_EEESQ_SR_lEENS3_INS4_IJSU_SG_SG_EEESW_NS4_IJSN_NSI_IJLi3EEEENSI_IJLi4EEEEEEESO_lEELi128ELi128ELi16ELi4ELi4ELi4ELi1ENSI_IJLi8ELi2EEEES13_NSI_IJLi2ELi1ELi4ELi4EEEENSI_IJLi8ELi1ELi32ELi1EEEENSI_IJLi0ELi3ELi1ELi2EEEES16_NSI_IJLi1ELi1ELi4ELi1EEEES16_NSI_IJLi1ELi1ELi4ELi4EEEES14_S15_S16_S16_S17_S16_S18_NSI_IJLi0ELi1ELi2ELi3ELi4ELi5EEEELi5ELi4EEEaaNS3_INS4_IJSA_SE_SG_SG_NSB_INS4_IJiNS7_IiLi128EEEEEELb0EEENSF_ISC_EEEEENS4_IJSJ_SK_SL_SZ_SP_S10_EEENS4_IJSN_SO_SP_NSI_IJLi6EEEENSI_IJLi7ELi8EEEENSI_IJLi9EEEEEEENSI_IJLi6ELi7ELi8ELi9EEEElEENS3_INS4_IJSU_SE_SG_SG_S1D_S1E_EEENS4_IJSJ_SL_SK_SZ_SP_S10_EEES1K_S1L_lEENS3_INS4_IJSU_SG_SG_NSB_INS4_IJiNS7_IiLi2EEENS7_IiLi64EEEEEELb0EEES1T_EEENS4_IJSJ_SL_SK_SZ_S10_EEENS4_IJSN_SZ_S10_NSI_IJLi5ELi6ELi7EEEENSI_IJLi8ELi9ELi10EEEEEEENSI_IJLi5ELi6ELi7ELi8ELi9ELi10EEEElEENS_31BlockToCTileMap_M00_N00_M01_N01ILi128ELi128ES12_Lb0EEELb0ELb1EEEvPKT0_S25_PT1_T2_T3_T4_T5_
    .private_segment_fixed_size: 480
    .sgpr_count:     42
    .sgpr_spill_count: 0
    .symbol:         _ZN2ck19kernel_gemm_dl_v1r3INS_28GridwiseGemmDl_km_kn_mn_v1r3ILi256EaiaLNS_25InMemoryDataOperationEnumE0ENS_16TensorDescriptorINS_5TupleIJNS_5EmbedINS4_IJiiEEENS4_IJNS_17integral_constantIiLi1EEEiEEELb0EEENS_7UnMergeINS4_IJiNS7_IiLi4EEEEEELb0EEENS_11PassThroughIiEEEEENS4_IJNS_8SequenceIJLi0EEEENSI_IJLi2EEEENSI_IJLi1EEEEEEENS4_IJNSI_IJLi1ELi2EEEENSI_IJLi3ELi4EEEENSI_IJLi5EEEEEEENSI_IJLi3ELi5ELi4EEEElEENS3_INS4_IJNS5_IS6_NS4_IJiS8_EEELb0EEESE_SG_EEENS4_IJSJ_SL_SK_EEESQ_SR_lEENS3_INS4_IJSU_SG_SG_EEESW_NS4_IJSN_NSI_IJLi3EEEENSI_IJLi4EEEEEEESO_lEELi128ELi128ELi16ELi4ELi4ELi4ELi1ENSI_IJLi8ELi2EEEES13_NSI_IJLi2ELi1ELi4ELi4EEEENSI_IJLi8ELi1ELi32ELi1EEEENSI_IJLi0ELi3ELi1ELi2EEEES16_NSI_IJLi1ELi1ELi4ELi1EEEES16_NSI_IJLi1ELi1ELi4ELi4EEEES14_S15_S16_S16_S17_S16_S18_NSI_IJLi0ELi1ELi2ELi3ELi4ELi5EEEELi5ELi4EEEaaNS3_INS4_IJSA_SE_SG_SG_NSB_INS4_IJiNS7_IiLi128EEEEEELb0EEENSF_ISC_EEEEENS4_IJSJ_SK_SL_SZ_SP_S10_EEENS4_IJSN_SO_SP_NSI_IJLi6EEEENSI_IJLi7ELi8EEEENSI_IJLi9EEEEEEENSI_IJLi6ELi7ELi8ELi9EEEElEENS3_INS4_IJSU_SE_SG_SG_S1D_S1E_EEENS4_IJSJ_SL_SK_SZ_SP_S10_EEES1K_S1L_lEENS3_INS4_IJSU_SG_SG_NSB_INS4_IJiNS7_IiLi2EEENS7_IiLi64EEEEEELb0EEES1T_EEENS4_IJSJ_SL_SK_SZ_S10_EEENS4_IJSN_SZ_S10_NSI_IJLi5ELi6ELi7EEEENSI_IJLi8ELi9ELi10EEEEEEENSI_IJLi5ELi6ELi7ELi8ELi9ELi10EEEElEENS_31BlockToCTileMap_M00_N00_M01_N01ILi128ELi128ES12_Lb0EEELb0ELb1EEEvPKT0_S25_PT1_T2_T3_T4_T5_.kd
    .uniform_work_group_size: 1
    .uses_dynamic_stack: false
    .vgpr_count:     113
    .vgpr_spill_count: 0
    .wavefront_size: 32
    .workgroup_processor_mode: 1
  - .args:
      - .address_space:  global
        .offset:         0
        .size:           8
        .value_kind:     global_buffer
      - .address_space:  global
        .offset:         8
        .size:           8
        .value_kind:     global_buffer
      - .address_space:  global
        .offset:         16
        .size:           8
        .value_kind:     global_buffer
      - .offset:         24
        .size:           64
        .value_kind:     by_value
      - .offset:         88
        .size:           64
        .value_kind:     by_value
      - .offset:         152
        .size:           64
        .value_kind:     by_value
      - .offset:         216
        .size:           112
        .value_kind:     by_value
    .group_segment_fixed_size: 32768
    .kernarg_segment_align: 8
    .kernarg_segment_size: 328
    .language:       OpenCL C
    .language_version:
      - 2
      - 0
    .max_flat_workgroup_size: 256
    .name:           _ZN2ck19kernel_gemm_dl_v1r3INS_28GridwiseGemmDl_km_kn_mn_v1r3ILi256EaiaLNS_25InMemoryDataOperationEnumE0ENS_16TensorDescriptorINS_5TupleIJNS_5EmbedINS4_IJiiEEENS4_IJNS_17integral_constantIiLi1EEEiEEELb0EEENS_7UnMergeINS4_IJiNS7_IiLi4EEEEEELb0EEENS_11PassThroughIiEEEEENS4_IJNS_8SequenceIJLi0EEEENSI_IJLi2EEEENSI_IJLi1EEEEEEENS4_IJNSI_IJLi1ELi2EEEENSI_IJLi3ELi4EEEENSI_IJLi5EEEEEEENSI_IJLi3ELi5ELi4EEEElEENS3_INS4_IJNS5_IS6_NS4_IJiS8_EEELb0EEESE_SG_EEENS4_IJSJ_SL_SK_EEESQ_SR_lEENS3_INS4_IJSU_SG_SG_EEESW_NS4_IJSN_NSI_IJLi3EEEENSI_IJLi4EEEEEEESO_lEELi128ELi128ELi16ELi4ELi4ELi4ELi1ENSI_IJLi8ELi2EEEES13_NSI_IJLi2ELi1ELi4ELi4EEEENSI_IJLi8ELi1ELi32ELi1EEEENSI_IJLi0ELi3ELi1ELi2EEEES16_NSI_IJLi1ELi1ELi4ELi1EEEES16_NSI_IJLi1ELi1ELi4ELi4EEEES14_S15_S16_S16_S17_S16_S18_NSI_IJLi0ELi1ELi2ELi3ELi4ELi5EEEELi5ELi4EEEaaNS3_INS4_IJSA_SE_SG_SG_NSB_INS4_IJiNS7_IiLi128EEEEEELb0EEENSF_ISC_EEEEENS4_IJSJ_SK_SL_SZ_SP_S10_EEENS4_IJSN_SO_SP_NSI_IJLi6EEEENSI_IJLi7ELi8EEEENSI_IJLi9EEEEEEENSI_IJLi6ELi7ELi8ELi9EEEElEENS3_INS4_IJSU_SE_SG_SG_S1D_S1E_EEENS4_IJSJ_SL_SK_SZ_SP_S10_EEES1K_S1L_lEENS3_INS4_IJSU_SG_SG_NSB_INS4_IJiNS7_IiLi2EEENS7_IiLi64EEEEEELb0EEES1T_EEENS4_IJSJ_SL_SK_SZ_S10_EEENS4_IJSN_SZ_S10_NSI_IJLi5ELi6ELi7EEEENSI_IJLi8ELi9ELi10EEEEEEENSI_IJLi5ELi6ELi7ELi8ELi9ELi10EEEElEENS_31BlockToCTileMap_M00_N00_M01_N01ILi128ELi128ES12_Lb0EEELb0ELb0EEEvPKT0_S25_PT1_T2_T3_T4_T5_
    .private_segment_fixed_size: 448
    .sgpr_count:     36
    .sgpr_spill_count: 0
    .symbol:         _ZN2ck19kernel_gemm_dl_v1r3INS_28GridwiseGemmDl_km_kn_mn_v1r3ILi256EaiaLNS_25InMemoryDataOperationEnumE0ENS_16TensorDescriptorINS_5TupleIJNS_5EmbedINS4_IJiiEEENS4_IJNS_17integral_constantIiLi1EEEiEEELb0EEENS_7UnMergeINS4_IJiNS7_IiLi4EEEEEELb0EEENS_11PassThroughIiEEEEENS4_IJNS_8SequenceIJLi0EEEENSI_IJLi2EEEENSI_IJLi1EEEEEEENS4_IJNSI_IJLi1ELi2EEEENSI_IJLi3ELi4EEEENSI_IJLi5EEEEEEENSI_IJLi3ELi5ELi4EEEElEENS3_INS4_IJNS5_IS6_NS4_IJiS8_EEELb0EEESE_SG_EEENS4_IJSJ_SL_SK_EEESQ_SR_lEENS3_INS4_IJSU_SG_SG_EEESW_NS4_IJSN_NSI_IJLi3EEEENSI_IJLi4EEEEEEESO_lEELi128ELi128ELi16ELi4ELi4ELi4ELi1ENSI_IJLi8ELi2EEEES13_NSI_IJLi2ELi1ELi4ELi4EEEENSI_IJLi8ELi1ELi32ELi1EEEENSI_IJLi0ELi3ELi1ELi2EEEES16_NSI_IJLi1ELi1ELi4ELi1EEEES16_NSI_IJLi1ELi1ELi4ELi4EEEES14_S15_S16_S16_S17_S16_S18_NSI_IJLi0ELi1ELi2ELi3ELi4ELi5EEEELi5ELi4EEEaaNS3_INS4_IJSA_SE_SG_SG_NSB_INS4_IJiNS7_IiLi128EEEEEELb0EEENSF_ISC_EEEEENS4_IJSJ_SK_SL_SZ_SP_S10_EEENS4_IJSN_SO_SP_NSI_IJLi6EEEENSI_IJLi7ELi8EEEENSI_IJLi9EEEEEEENSI_IJLi6ELi7ELi8ELi9EEEElEENS3_INS4_IJSU_SE_SG_SG_S1D_S1E_EEENS4_IJSJ_SL_SK_SZ_SP_S10_EEES1K_S1L_lEENS3_INS4_IJSU_SG_SG_NSB_INS4_IJiNS7_IiLi2EEENS7_IiLi64EEEEEELb0EEES1T_EEENS4_IJSJ_SL_SK_SZ_S10_EEENS4_IJSN_SZ_S10_NSI_IJLi5ELi6ELi7EEEENSI_IJLi8ELi9ELi10EEEEEEENSI_IJLi5ELi6ELi7ELi8ELi9ELi10EEEElEENS_31BlockToCTileMap_M00_N00_M01_N01ILi128ELi128ES12_Lb0EEELb0ELb0EEEvPKT0_S25_PT1_T2_T3_T4_T5_.kd
    .uniform_work_group_size: 1
    .uses_dynamic_stack: false
    .vgpr_count:     82
    .vgpr_spill_count: 0
    .wavefront_size: 32
    .workgroup_processor_mode: 1
  - .args:
      - .actual_access:  read_only
        .address_space:  global
        .offset:         0
        .size:           8
        .value_kind:     global_buffer
      - .actual_access:  read_only
        .address_space:  global
        .offset:         8
        .size:           8
        .value_kind:     global_buffer
      - .actual_access:  write_only
        .address_space:  global
        .offset:         16
        .size:           8
        .value_kind:     global_buffer
      - .offset:         24
        .size:           4
        .value_kind:     by_value
      - .offset:         28
        .size:           4
        .value_kind:     by_value
      - .offset:         32
        .size:           4
        .value_kind:     by_value
      - .offset:         36
        .size:           1
        .value_kind:     by_value
      - .offset:         37
        .size:           1
        .value_kind:     by_value
      - .offset:         38
        .size:           1
        .value_kind:     by_value
      - .offset:         40
        .size:           4
        .value_kind:     hidden_block_count_x
      - .offset:         44
        .size:           4
        .value_kind:     hidden_block_count_y
      - .offset:         48
        .size:           4
        .value_kind:     hidden_block_count_z
      - .offset:         52
        .size:           2
        .value_kind:     hidden_group_size_x
      - .offset:         54
        .size:           2
        .value_kind:     hidden_group_size_y
      - .offset:         56
        .size:           2
        .value_kind:     hidden_group_size_z
      - .offset:         58
        .size:           2
        .value_kind:     hidden_remainder_x
      - .offset:         60
        .size:           2
        .value_kind:     hidden_remainder_y
      - .offset:         62
        .size:           2
        .value_kind:     hidden_remainder_z
      - .offset:         80
        .size:           8
        .value_kind:     hidden_global_offset_x
      - .offset:         88
        .size:           8
        .value_kind:     hidden_global_offset_y
      - .offset:         96
        .size:           8
        .value_kind:     hidden_global_offset_z
      - .offset:         104
        .size:           2
        .value_kind:     hidden_grid_dims
    .group_segment_fixed_size: 0
    .kernarg_segment_align: 8
    .kernarg_segment_size: 296
    .language:       OpenCL C
    .language_version:
      - 2
      - 0
    .max_flat_workgroup_size: 256
    .name:           _ZN2ck17naive_gemm_kernelINS_13tensor_layout4gemm11ColumnMajorENS2_8RowMajorES4_aaaiNS_16tensor_operation12element_wise11PassThroughES7_S7_aaEEvPKT2_PKT3_PT4_iiiT6_T7_T8_
    .private_segment_fixed_size: 0
    .sgpr_count:     18
    .sgpr_spill_count: 0
    .symbol:         _ZN2ck17naive_gemm_kernelINS_13tensor_layout4gemm11ColumnMajorENS2_8RowMajorES4_aaaiNS_16tensor_operation12element_wise11PassThroughES7_S7_aaEEvPKT2_PKT3_PT4_iiiT6_T7_T8_.kd
    .uniform_work_group_size: 1
    .uses_dynamic_stack: false
    .vgpr_count:     10
    .vgpr_spill_count: 0
    .wavefront_size: 32
    .workgroup_processor_mode: 1
amdhsa.target:   amdgcn-amd-amdhsa--gfx1100
amdhsa.version:
  - 1
  - 2
...

	.end_amdgpu_metadata
